;; amdgpu-corpus repo=ROCm/rocFFT kind=compiled arch=gfx1201 opt=O3
	.text
	.amdgcn_target "amdgcn-amd-amdhsa--gfx1201"
	.amdhsa_code_object_version 6
	.protected	bluestein_single_fwd_len450_dim1_dp_op_CI_CI ; -- Begin function bluestein_single_fwd_len450_dim1_dp_op_CI_CI
	.globl	bluestein_single_fwd_len450_dim1_dp_op_CI_CI
	.p2align	8
	.type	bluestein_single_fwd_len450_dim1_dp_op_CI_CI,@function
bluestein_single_fwd_len450_dim1_dp_op_CI_CI: ; @bluestein_single_fwd_len450_dim1_dp_op_CI_CI
; %bb.0:
	s_load_b128 s[12:15], s[0:1], 0x28
	v_mul_u32_u24_e32 v1, 0x889, v0
	v_mov_b32_e32 v7, 0
	s_mov_b32 s2, exec_lo
	s_delay_alu instid0(VALU_DEP_2) | instskip(NEXT) | instid1(VALU_DEP_1)
	v_lshrrev_b32_e32 v1, 16, v1
	v_lshl_add_u32 v6, ttmp9, 2, v1
	s_wait_kmcnt 0x0
	s_delay_alu instid0(VALU_DEP_1)
	v_cmpx_gt_u64_e64 s[12:13], v[6:7]
	s_cbranch_execz .LBB0_15
; %bb.1:
	s_clause 0x1
	s_load_b128 s[4:7], s[0:1], 0x18
	s_load_b64 s[12:13], s[0:1], 0x0
	v_mul_lo_u16 v2, v1, 30
	s_delay_alu instid0(VALU_DEP_1)
	v_sub_nc_u16 v20, v0, v2
	s_wait_kmcnt 0x0
	s_load_b128 s[8:11], s[4:5], 0x0
	s_wait_kmcnt 0x0
	v_mad_co_u64_u32 v[2:3], null, s10, v6, 0
	v_and_b32_e32 v21, 0xffff, v20
	s_mul_u64 s[2:3], s[8:9], 45
	s_delay_alu instid0(VALU_DEP_2) | instskip(NEXT) | instid1(VALU_DEP_2)
	v_mov_b32_e32 v0, v3
	v_mad_co_u64_u32 v[4:5], null, s8, v21, 0
	s_delay_alu instid0(VALU_DEP_1)
	v_mov_b32_e32 v3, v5
	v_mov_b32_e32 v5, v6
	scratch_store_b64 off, v[5:6], off offset:8 ; 8-byte Folded Spill
	v_mad_co_u64_u32 v[5:6], null, s11, v6, v[0:1]
	v_lshlrev_b32_e32 v0, 4, v21
	v_mad_co_u64_u32 v[6:7], null, s9, v21, v[3:4]
	s_clause 0x1
	global_load_b128 v[22:25], v0, s[12:13]
	global_load_b128 v[26:29], v0, s[12:13] offset:720
	v_mov_b32_e32 v3, v5
	s_clause 0x3
	global_load_b128 v[30:33], v0, s[12:13] offset:1440
	global_load_b128 v[34:37], v0, s[12:13] offset:2160
	;; [unrolled: 1-line block ×4, first 2 shown]
	v_mov_b32_e32 v5, v6
	s_clause 0x1
	global_load_b128 v[112:115], v0, s[12:13] offset:4320
	global_load_b128 v[116:119], v0, s[12:13] offset:5040
	v_lshlrev_b64_e32 v[2:3], 4, v[2:3]
	v_and_b32_e32 v1, 3, v1
	s_load_b64 s[10:11], s[0:1], 0x38
	v_lshlrev_b64_e32 v[4:5], 4, v[4:5]
	s_delay_alu instid0(VALU_DEP_3) | instskip(NEXT) | instid1(VALU_DEP_4)
	v_add_co_u32 v2, vcc_lo, s14, v2
	v_add_co_ci_u32_e32 v3, vcc_lo, s15, v3, vcc_lo
	s_lshl_b64 s[14:15], s[2:3], 4
	s_delay_alu instid0(VALU_DEP_2) | instskip(SKIP_1) | instid1(VALU_DEP_2)
	v_add_co_u32 v2, vcc_lo, v2, v4
	s_wait_alu 0xfffd
	v_add_co_ci_u32_e32 v3, vcc_lo, v3, v5, vcc_lo
	v_mul_u32_u24_e32 v1, 0x1c2, v1
	s_wait_alu 0xfffe
	v_add_co_u32 v4, vcc_lo, v2, s14
	s_wait_alu 0xfffd
	v_add_co_ci_u32_e32 v5, vcc_lo, s15, v3, vcc_lo
	s_clause 0x1
	global_load_b128 v[42:45], v[2:3], off
	global_load_b128 v[46:49], v[4:5], off
	v_add_co_u32 v6, vcc_lo, v4, s14
	s_wait_alu 0xfffd
	v_add_co_ci_u32_e32 v7, vcc_lo, s15, v5, vcc_lo
	s_delay_alu instid0(VALU_DEP_2) | instskip(SKIP_1) | instid1(VALU_DEP_2)
	v_add_co_u32 v8, vcc_lo, v6, s14
	s_wait_alu 0xfffd
	v_add_co_ci_u32_e32 v9, vcc_lo, s15, v7, vcc_lo
	s_clause 0x1
	global_load_b128 v[50:53], v[6:7], off
	global_load_b128 v[54:57], v[8:9], off
	v_add_co_u32 v10, vcc_lo, v8, s14
	s_wait_alu 0xfffd
	v_add_co_ci_u32_e32 v11, vcc_lo, s15, v9, vcc_lo
	s_delay_alu instid0(VALU_DEP_2) | instskip(SKIP_1) | instid1(VALU_DEP_2)
	v_add_co_u32 v2, vcc_lo, v10, s14
	s_wait_alu 0xfffd
	v_add_co_ci_u32_e32 v3, vcc_lo, s15, v11, vcc_lo
	global_load_b128 v[58:61], v[10:11], off
	v_add_co_u32 v4, vcc_lo, v2, s14
	s_wait_alu 0xfffd
	v_add_co_ci_u32_e32 v5, vcc_lo, s15, v3, vcc_lo
	global_load_b128 v[62:65], v[2:3], off
	;; [unrolled: 4-line block ×3, first 2 shown]
	v_add_co_u32 v2, vcc_lo, v6, s14
	s_wait_alu 0xfffd
	v_add_co_ci_u32_e32 v3, vcc_lo, s15, v7, vcc_lo
	s_delay_alu instid0(VALU_DEP_2) | instskip(SKIP_1) | instid1(VALU_DEP_2)
	v_add_co_u32 v40, vcc_lo, v2, s14
	s_wait_alu 0xfffd
	v_add_co_ci_u32_e32 v41, vcc_lo, s15, v3, vcc_lo
	global_load_b128 v[70:73], v[6:7], off
	global_load_b128 v[74:77], v[2:3], off
	s_clause 0x1
	global_load_b128 v[120:123], v0, s[12:13] offset:5760
	global_load_b128 v[124:127], v0, s[12:13] offset:6480
	global_load_b128 v[78:81], v[40:41], off
	s_load_b128 s[4:7], s[6:7], 0x0
	v_cmp_gt_u16_e32 vcc_lo, 15, v20
	s_wait_loadcnt 0x12
	scratch_store_b128 off, v[26:29], off offset:32 ; 16-byte Folded Spill
	s_wait_loadcnt 0x11
	scratch_store_b128 off, v[30:33], off offset:48 ; 16-byte Folded Spill
	;; [unrolled: 2-line block ×7, first 2 shown]
	s_wait_loadcnt 0xb
	v_mul_f64_e32 v[2:3], v[44:45], v[24:25]
	v_mul_f64_e32 v[4:5], v[42:43], v[24:25]
	s_wait_loadcnt 0xa
	v_mul_f64_e32 v[6:7], v[48:49], v[28:29]
	v_mul_f64_e32 v[8:9], v[46:47], v[28:29]
	v_lshlrev_b32_e32 v28, 4, v1
	s_delay_alu instid0(VALU_DEP_1)
	v_add_nc_u32_e32 v251, v28, v0
	v_add_co_u32 v0, s2, s12, v0
	s_wait_loadcnt 0x9
	v_mul_f64_e32 v[10:11], v[52:53], v[32:33]
	v_mul_f64_e32 v[12:13], v[50:51], v[32:33]
	s_wait_loadcnt 0x8
	v_mul_f64_e32 v[14:15], v[56:57], v[36:37]
	v_mul_f64_e32 v[16:17], v[54:55], v[36:37]
	v_add_co_ci_u32_e64 v1, null, s13, 0, s2
	s_clause 0x1
	scratch_store_b128 off, v[22:25], off offset:16
	scratch_store_b64 off, v[0:1], off
	s_wait_loadcnt 0x7
	v_mul_f64_e32 v[18:19], v[60:61], v[106:107]
	v_mul_f64_e32 v[82:83], v[58:59], v[106:107]
	s_wait_loadcnt 0x6
	v_mul_f64_e32 v[84:85], v[64:65], v[110:111]
	v_mul_f64_e32 v[86:87], v[62:63], v[110:111]
	;; [unrolled: 3-line block ×3, first 2 shown]
	v_fma_f64 v[42:43], v[42:43], v[22:23], v[2:3]
	s_wait_loadcnt 0x4
	v_mul_f64_e32 v[92:93], v[72:73], v[118:119]
	v_mul_f64_e32 v[94:95], v[70:71], v[118:119]
	s_wait_loadcnt 0x2
	v_mul_f64_e32 v[96:97], v[76:77], v[122:123]
	v_mul_f64_e32 v[98:99], v[74:75], v[122:123]
	;; [unrolled: 3-line block ×3, first 2 shown]
	v_fma_f64 v[44:45], v[44:45], v[22:23], -v[4:5]
	v_fma_f64 v[46:47], v[46:47], v[26:27], v[6:7]
	v_fma_f64 v[48:49], v[48:49], v[26:27], -v[8:9]
	s_clause 0x1
	scratch_store_b128 off, v[120:123], off offset:144
	scratch_store_b128 off, v[124:127], off offset:160
	v_fma_f64 v[50:51], v[50:51], v[30:31], v[10:11]
	v_fma_f64 v[52:53], v[52:53], v[30:31], -v[12:13]
	v_fma_f64 v[54:55], v[54:55], v[34:35], v[14:15]
	v_fma_f64 v[56:57], v[56:57], v[34:35], -v[16:17]
	;; [unrolled: 2-line block ×4, first 2 shown]
	ds_store_b128 v251, v[42:45]
	ds_store_b128 v251, v[46:49] offset:720
	ds_store_b128 v251, v[50:53] offset:1440
	;; [unrolled: 1-line block ×5, first 2 shown]
	v_fma_f64 v[66:67], v[66:67], v[112:113], v[88:89]
	v_fma_f64 v[68:69], v[68:69], v[112:113], -v[90:91]
	v_fma_f64 v[70:71], v[70:71], v[116:117], v[92:93]
	v_fma_f64 v[72:73], v[72:73], v[116:117], -v[94:95]
	;; [unrolled: 2-line block ×4, first 2 shown]
	ds_store_b128 v251, v[66:69] offset:4320
	ds_store_b128 v251, v[70:73] offset:5040
	;; [unrolled: 1-line block ×4, first 2 shown]
	s_and_saveexec_b32 s3, vcc_lo
	s_cbranch_execz .LBB0_3
; %bb.2:
	scratch_load_b64 v[14:15], off, off     ; 8-byte Folded Reload
	v_mad_co_u64_u32 v[4:5], null, 0xffffe890, s8, v[40:41]
	s_mul_i32 s2, s9, 0xffffe890
	s_wait_loadcnt 0x0
	s_clause 0x1
	global_load_b128 v[0:3], v[14:15], off offset:480
	global_load_b128 v[40:43], v[14:15], off offset:1200
	s_wait_alu 0xfffe
	s_sub_co_i32 s2, s2, s8
	s_clause 0x1
	global_load_b128 v[44:47], v[14:15], off offset:1920
	global_load_b128 v[48:51], v[14:15], off offset:2640
	s_wait_alu 0xfffe
	v_add_nc_u32_e32 v5, s2, v5
	v_add_co_u32 v6, s2, v4, s14
	s_clause 0x1
	global_load_b128 v[52:55], v[14:15], off offset:3360
	global_load_b128 v[56:59], v[14:15], off offset:4080
	s_wait_alu 0xf1ff
	v_add_co_ci_u32_e64 v7, s2, s15, v5, s2
	v_add_co_u32 v8, s2, v6, s14
	global_load_b128 v[60:63], v[4:5], off
	s_wait_alu 0xf1ff
	v_add_co_ci_u32_e64 v9, s2, s15, v7, s2
	v_add_co_u32 v10, s2, v8, s14
	global_load_b128 v[64:67], v[6:7], off
	s_wait_alu 0xf1ff
	v_add_co_ci_u32_e64 v11, s2, s15, v9, s2
	v_add_co_u32 v12, s2, v10, s14
	s_wait_alu 0xf1ff
	s_delay_alu instid0(VALU_DEP_2) | instskip(NEXT) | instid1(VALU_DEP_2)
	v_add_co_ci_u32_e64 v13, s2, s15, v11, s2
	v_add_co_u32 v4, s2, v12, s14
	s_wait_alu 0xf1ff
	s_delay_alu instid0(VALU_DEP_2) | instskip(NEXT) | instid1(VALU_DEP_2)
	v_add_co_ci_u32_e64 v5, s2, s15, v13, s2
	v_add_co_u32 v6, s2, v4, s14
	s_wait_alu 0xf1ff
	s_delay_alu instid0(VALU_DEP_2)
	v_add_co_ci_u32_e64 v7, s2, s15, v5, s2
	global_load_b128 v[68:71], v[8:9], off
	global_load_b128 v[72:75], v[10:11], off
	;; [unrolled: 1-line block ×5, first 2 shown]
	v_add_co_u32 v4, s2, v6, s14
	s_wait_alu 0xf1ff
	v_add_co_ci_u32_e64 v5, s2, s15, v7, s2
	global_load_b128 v[88:91], v[14:15], off offset:4800
	v_add_co_u32 v6, s2, v4, s14
	s_wait_alu 0xf1ff
	v_add_co_ci_u32_e64 v7, s2, s15, v5, s2
	global_load_b128 v[92:95], v[4:5], off
	v_add_co_u32 v4, s2, v6, s14
	s_wait_alu 0xf1ff
	v_add_co_ci_u32_e64 v5, s2, s15, v7, s2
	global_load_b128 v[96:99], v[14:15], off offset:5520
	global_load_b128 v[100:103], v[6:7], off
	s_clause 0x1
	global_load_b128 v[104:107], v[14:15], off offset:6240
	global_load_b128 v[108:111], v[14:15], off offset:6960
	global_load_b128 v[112:115], v[4:5], off
	s_wait_loadcnt 0xd
	v_mul_f64_e32 v[4:5], v[62:63], v[2:3]
	v_mul_f64_e32 v[2:3], v[60:61], v[2:3]
	s_wait_loadcnt 0xc
	v_mul_f64_e32 v[6:7], v[66:67], v[42:43]
	v_mul_f64_e32 v[8:9], v[64:65], v[42:43]
	;; [unrolled: 3-line block ×10, first 2 shown]
	v_fma_f64 v[58:59], v[60:61], v[0:1], v[4:5]
	v_fma_f64 v[60:61], v[62:63], v[0:1], -v[2:3]
	v_fma_f64 v[0:1], v[64:65], v[40:41], v[6:7]
	v_fma_f64 v[2:3], v[66:67], v[40:41], -v[8:9]
	;; [unrolled: 2-line block ×10, first 2 shown]
	ds_store_b128 v251, v[58:61] offset:480
	ds_store_b128 v251, v[0:3] offset:1200
	;; [unrolled: 1-line block ×10, first 2 shown]
.LBB0_3:
	s_wait_alu 0xfffe
	s_or_b32 exec_lo, exec_lo, s3
	global_wb scope:SCOPE_SE
	s_wait_storecnt_dscnt 0x0
	s_wait_kmcnt 0x0
	s_barrier_signal -1
	s_barrier_wait -1
	global_inv scope:SCOPE_SE
	ds_load_b128 v[96:99], v251
	ds_load_b128 v[108:111], v251 offset:720
	ds_load_b128 v[116:119], v251 offset:1440
	;; [unrolled: 1-line block ×9, first 2 shown]
	s_load_b64 s[2:3], s[0:1], 0x8
                                        ; implicit-def: $vgpr80_vgpr81
                                        ; implicit-def: $vgpr100_vgpr101
                                        ; implicit-def: $vgpr60_vgpr61
                                        ; implicit-def: $vgpr112_vgpr113
                                        ; implicit-def: $vgpr84_vgpr85
                                        ; implicit-def: $vgpr88_vgpr89
                                        ; implicit-def: $vgpr76_vgpr77
                                        ; implicit-def: $vgpr72_vgpr73
                                        ; implicit-def: $vgpr56_vgpr57
                                        ; implicit-def: $vgpr64_vgpr65
	s_and_saveexec_b32 s0, vcc_lo
	s_cbranch_execz .LBB0_5
; %bb.4:
	ds_load_b128 v[80:83], v251 offset:480
	ds_load_b128 v[100:103], v251 offset:1200
	;; [unrolled: 1-line block ×10, first 2 shown]
.LBB0_5:
	s_wait_alu 0xfffe
	s_or_b32 exec_lo, exec_lo, s0
	s_wait_dscnt 0x3
	v_add_f64_e32 v[0:1], v[92:93], v[68:69]
	v_add_f64_e32 v[2:3], v[96:97], v[116:117]
	s_wait_dscnt 0x2
	v_add_f64_e32 v[4:5], v[52:53], v[48:49]
	s_wait_dscnt 0x1
	v_add_f64_e64 v[6:7], v[118:119], -v[46:47]
	s_wait_dscnt 0x0
	v_add_f64_e32 v[8:9], v[104:105], v[40:41]
	v_add_f64_e32 v[12:13], v[106:107], v[42:43]
	;; [unrolled: 1-line block ×10, first 2 shown]
	s_mov_b32 s0, 0x134454ff
	s_mov_b32 s1, 0x3fee6f0e
	v_add_f64_e64 v[10:11], v[94:95], -v[70:71]
	v_add_f64_e64 v[16:17], v[116:117], -v[92:93]
	;; [unrolled: 1-line block ×5, first 2 shown]
	v_add_f64_e32 v[126:127], v[98:99], v[118:119]
	v_add_f64_e64 v[116:117], v[116:117], -v[44:45]
	v_add_f64_e64 v[130:131], v[92:93], -v[68:69]
	v_add_f64_e32 v[140:141], v[108:109], v[104:105]
	v_add_f64_e64 v[148:149], v[106:107], -v[42:43]
	v_add_f64_e64 v[150:151], v[54:55], -v[50:51]
	;; [unrolled: 1-line block ×10, first 2 shown]
	s_mov_b32 s14, 0x4755a5e
	s_mov_b32 s15, 0x3fe2cf23
	;; [unrolled: 1-line block ×3, first 2 shown]
	v_fma_f64 v[0:1], v[0:1], -0.5, v[96:97]
	v_add_f64_e32 v[2:3], v[2:3], v[92:93]
	v_fma_f64 v[4:5], v[4:5], -0.5, v[108:109]
	v_add_f64_e64 v[92:93], v[114:115], -v[66:67]
	v_fma_f64 v[8:9], v[8:9], -0.5, v[108:109]
	v_add_f64_e64 v[108:109], v[52:53], -v[48:49]
	v_fma_f64 v[12:13], v[12:13], -0.5, v[110:111]
	v_fma_f64 v[14:15], v[14:15], -0.5, v[110:111]
	;; [unrolled: 1-line block ×3, first 2 shown]
	v_add_f64_e64 v[120:121], v[90:91], -v[74:75]
	v_fma_f64 v[128:129], v[128:129], -0.5, v[98:99]
	v_fma_f64 v[142:143], v[142:143], -0.5, v[100:101]
	;; [unrolled: 1-line block ×5, first 2 shown]
	v_add_f64_e64 v[136:137], v[112:113], -v[64:65]
	v_fma_f64 v[156:157], v[156:157], -0.5, v[102:103]
	s_wait_alu 0xfffe
	s_mov_b32 s18, s0
	v_add_f64_e64 v[132:133], v[118:119], -v[94:95]
	v_add_f64_e64 v[134:135], v[46:47], -v[70:71]
	;; [unrolled: 1-line block ×4, first 2 shown]
	v_add_f64_e32 v[110:111], v[110:111], v[106:107]
	v_add_f64_e64 v[106:107], v[54:55], -v[106:107]
	v_add_f64_e64 v[166:167], v[50:51], -v[42:43]
	v_add_f64_e32 v[170:171], v[84:85], v[76:77]
	v_add_f64_e32 v[176:177], v[60:61], v[56:57]
	;; [unrolled: 1-line block ×5, first 2 shown]
	v_add_f64_e64 v[194:195], v[112:113], -v[88:89]
	v_add_f64_e64 v[198:199], v[64:65], -v[72:73]
	;; [unrolled: 1-line block ×4, first 2 shown]
	v_add_f64_e32 v[102:103], v[102:103], v[114:115]
	v_add_f64_e64 v[206:207], v[114:115], -v[90:91]
	v_add_f64_e64 v[208:209], v[66:67], -v[74:75]
	;; [unrolled: 1-line block ×3, first 2 shown]
	v_fma_f64 v[190:191], v[6:7], s[0:1], v[0:1]
	v_add_f64_e64 v[210:211], v[74:75], -v[66:67]
	v_fma_f64 v[192:193], v[148:149], s[0:1], v[4:5]
	v_fma_f64 v[4:5], v[148:149], s[18:19], v[4:5]
	;; [unrolled: 1-line block ×7, first 2 shown]
	v_add_f64_e32 v[16:17], v[16:17], v[18:19]
	v_add_f64_e32 v[18:19], v[122:123], v[124:125]
	;; [unrolled: 1-line block ×7, first 2 shown]
	v_fma_f64 v[0:1], v[6:7], s[18:19], v[0:1]
	v_fma_f64 v[68:69], v[10:11], s[18:19], v[96:97]
	;; [unrolled: 1-line block ×11, first 2 shown]
	s_mov_b32 s17, 0xbfe2cf23
	s_mov_b32 s16, s14
	v_add_f64_e32 v[168:169], v[80:81], v[60:61]
	v_add_f64_e64 v[172:173], v[62:63], -v[58:59]
	v_add_f64_e64 v[174:175], v[86:87], -v[78:79]
	v_add_f64_e32 v[178:179], v[82:83], v[62:63]
	v_add_f64_e64 v[182:183], v[60:61], -v[56:57]
	v_add_f64_e64 v[184:185], v[84:85], -v[76:77]
	v_fma_f64 v[162:163], v[130:131], s[0:1], v[98:99]
	v_add_f64_e32 v[106:107], v[106:107], v[166:167]
	v_fma_f64 v[14:15], v[104:105], s[18:19], v[14:15]
	v_fma_f64 v[164:165], v[10:11], s[14:15], v[190:191]
	;; [unrolled: 1-line block ×10, first 2 shown]
	v_add_f64_e32 v[104:105], v[132:133], v[134:135]
	v_fma_f64 v[132:133], v[170:171], -0.5, v[80:81]
	v_add_f64_e32 v[118:119], v[118:119], v[138:139]
	v_add_f64_e32 v[52:53], v[140:141], v[52:53]
	v_fma_f64 v[80:81], v[176:177], -0.5, v[80:81]
	v_fma_f64 v[134:135], v[180:181], -0.5, v[82:83]
	;; [unrolled: 1-line block ×3, first 2 shown]
	v_add_f64_e32 v[138:139], v[194:195], v[198:199]
	v_add_f64_e32 v[112:113], v[112:113], v[204:205]
	;; [unrolled: 1-line block ×5, first 2 shown]
	v_fma_f64 v[94:95], v[130:131], s[18:19], v[98:99]
	v_fma_f64 v[98:99], v[136:137], s[18:19], v[156:157]
	v_add_f64_e32 v[2:3], v[2:3], v[44:45]
	v_fma_f64 v[0:1], v[10:11], s[16:17], v[0:1]
	v_fma_f64 v[10:11], v[6:7], s[14:15], v[68:69]
	;; [unrolled: 1-line block ×11, first 2 shown]
	s_mov_b32 s8, 0x372fe950
	s_mov_b32 s9, 0x3fd3c6ef
	v_fma_f64 v[142:143], v[116:117], s[16:17], v[162:163]
	s_wait_alu 0xfffe
	v_fma_f64 v[144:145], v[16:17], s[8:9], v[164:165]
	v_fma_f64 v[146:147], v[188:189], s[14:15], v[190:191]
	;; [unrolled: 1-line block ×3, first 2 shown]
	v_add_f64_e32 v[54:55], v[110:111], v[54:55]
	v_fma_f64 v[4:5], v[122:123], s[8:9], v[4:5]
	v_fma_f64 v[110:111], v[124:125], s[8:9], v[150:151]
	;; [unrolled: 1-line block ×7, first 2 shown]
	v_add_f64_e32 v[106:107], v[168:169], v[84:85]
	v_fma_f64 v[124:125], v[172:173], s[0:1], v[132:133]
	v_add_f64_e64 v[148:149], v[60:61], -v[84:85]
	v_add_f64_e64 v[150:151], v[56:57], -v[76:77]
	v_fma_f64 v[132:133], v[172:173], s[18:19], v[132:133]
	v_fma_f64 v[154:155], v[174:175], s[18:19], v[80:81]
	v_add_f64_e64 v[60:61], v[84:85], -v[60:61]
	v_add_f64_e64 v[84:85], v[76:77], -v[56:57]
	v_fma_f64 v[80:81], v[174:175], s[0:1], v[80:81]
	v_add_f64_e32 v[156:157], v[178:179], v[86:87]
	v_fma_f64 v[158:159], v[182:183], s[18:19], v[134:135]
	v_add_f64_e64 v[160:161], v[62:63], -v[86:87]
	v_add_f64_e64 v[162:163], v[58:59], -v[78:79]
	v_fma_f64 v[134:135], v[182:183], s[0:1], v[134:135]
	v_fma_f64 v[164:165], v[184:185], s[0:1], v[82:83]
	v_add_f64_e64 v[62:63], v[86:87], -v[62:63]
	v_add_f64_e64 v[86:87], v[78:79], -v[58:59]
	v_fma_f64 v[82:83], v[184:185], s[18:19], v[82:83]
	v_add_f64_e32 v[88:89], v[100:101], v[88:89]
	v_fma_f64 v[98:99], v[188:189], s[16:17], v[98:99]
	v_fma_f64 v[96:97], v[138:139], s[8:9], v[96:97]
	;; [unrolled: 1-line block ×5, first 2 shown]
	v_add_f64_e32 v[90:91], v[102:103], v[90:91]
	v_fma_f64 v[92:93], v[112:113], s[8:9], v[92:93]
	v_fma_f64 v[102:103], v[114:115], s[8:9], v[136:137]
	s_mov_b32 s20, 0x9b97f4a8
	v_fma_f64 v[112:113], v[140:141], s[8:9], v[146:147]
	s_mov_b32 s21, 0x3fe9e377
	v_fma_f64 v[94:95], v[116:117], s[14:15], v[94:95]
	v_add_f64_e32 v[48:49], v[52:53], v[48:49]
	v_add_f64_e32 v[50:51], v[54:55], v[50:51]
	v_fma_f64 v[14:15], v[126:127], s[8:9], v[14:15]
	v_mul_f64_e32 v[52:53], s[20:21], v[152:153]
	v_mul_f64_e32 v[54:55], s[0:1], v[108:109]
	;; [unrolled: 1-line block ×5, first 2 shown]
	v_add_f64_e32 v[76:77], v[106:107], v[76:77]
	v_fma_f64 v[106:107], v[174:175], s[14:15], v[124:125]
	v_add_f64_e32 v[124:125], v[148:149], v[150:151]
	v_fma_f64 v[132:133], v[174:175], s[16:17], v[132:133]
	v_fma_f64 v[146:147], v[172:173], s[14:15], v[154:155]
	v_mul_f64_e32 v[114:115], s[8:9], v[8:9]
	v_add_f64_e32 v[60:61], v[60:61], v[84:85]
	v_fma_f64 v[80:81], v[172:173], s[16:17], v[80:81]
	v_add_f64_e32 v[78:79], v[156:157], v[78:79]
	v_fma_f64 v[84:85], v[184:185], s[16:17], v[158:159]
	v_mul_f64_e32 v[136:137], s[8:9], v[12:13]
	v_add_f64_e32 v[148:149], v[160:161], v[162:163]
	v_fma_f64 v[134:135], v[184:185], s[14:15], v[134:135]
	v_fma_f64 v[150:151], v[182:183], s[16:17], v[164:165]
	v_mul_f64_e32 v[116:117], s[20:21], v[4:5]
	v_add_f64_e32 v[62:63], v[62:63], v[86:87]
	v_fma_f64 v[86:87], v[182:183], s[14:15], v[82:83]
	v_add_f64_e32 v[72:73], v[88:89], v[72:73]
	v_fma_f64 v[98:99], v[140:141], s[8:9], v[98:99]
	v_mul_f64_e32 v[140:141], s[20:21], v[96:97]
	v_mul_f64_e32 v[152:153], s[0:1], v[100:101]
	;; [unrolled: 1-line block ×4, first 2 shown]
	v_add_f64_e32 v[158:159], v[90:91], v[74:75]
	v_mul_f64_e32 v[96:97], s[16:17], v[96:97]
	v_mul_f64_e32 v[160:161], s[18:19], v[92:93]
	;; [unrolled: 1-line block ×4, first 2 shown]
	v_fma_f64 v[0:1], v[16:17], s[8:9], v[0:1]
	v_fma_f64 v[10:11], v[18:19], s[8:9], v[10:11]
	;; [unrolled: 1-line block ×3, first 2 shown]
	v_add_f64_e32 v[16:17], v[70:71], v[46:47]
	v_fma_f64 v[18:19], v[104:105], s[8:9], v[44:45]
	v_fma_f64 v[68:69], v[104:105], s[8:9], v[68:69]
	;; [unrolled: 1-line block ×4, first 2 shown]
	v_add_f64_e32 v[166:167], v[48:49], v[40:41]
	v_fma_f64 v[52:53], v[14:15], s[14:15], v[52:53]
	v_fma_f64 v[54:55], v[110:111], s[8:9], v[54:55]
	v_add_f64_e32 v[168:169], v[50:51], v[42:43]
	v_fma_f64 v[14:15], v[14:15], s[20:21], v[126:127]
	v_fma_f64 v[130:131], v[108:109], s[8:9], v[130:131]
	v_fma_f64 v[4:5], v[4:5], s[16:17], -v[138:139]
	v_add_f64_e32 v[42:43], v[76:77], v[56:57]
	v_fma_f64 v[44:45], v[124:125], s[8:9], v[106:107]
	v_fma_f64 v[40:41], v[124:125], s[8:9], v[132:133]
	;; [unrolled: 1-line block ×4, first 2 shown]
	v_add_f64_e32 v[80:81], v[78:79], v[58:59]
	v_fma_f64 v[82:83], v[148:149], s[8:9], v[84:85]
	v_fma_f64 v[90:91], v[148:149], s[8:9], v[134:135]
	v_fma_f64 v[12:13], v[12:13], s[0:1], -v[114:115]
	v_fma_f64 v[8:9], v[8:9], s[18:19], -v[136:137]
	v_fma_f64 v[84:85], v[62:63], s[8:9], v[150:151]
	v_fma_f64 v[88:89], v[62:63], s[8:9], v[86:87]
	v_add_f64_e32 v[50:51], v[72:73], v[64:65]
	v_fma_f64 v[122:123], v[122:123], s[14:15], -v[116:117]
	v_fma_f64 v[72:73], v[98:99], s[14:15], v[140:141]
	v_fma_f64 v[74:75], v[92:93], s[8:9], v[152:153]
	v_fma_f64 v[76:77], v[102:103], s[0:1], -v[154:155]
	v_fma_f64 v[78:79], v[112:113], s[14:15], -v[156:157]
	v_add_f64_e32 v[86:87], v[158:159], v[66:67]
	v_fma_f64 v[92:93], v[98:99], s[20:21], v[96:97]
	v_fma_f64 v[94:95], v[100:101], s[8:9], v[160:161]
	v_fma_f64 v[96:97], v[128:129], s[18:19], -v[162:163]
	v_fma_f64 v[98:99], v[120:121], s[16:17], -v[164:165]
	v_add_co_u32 v156, s20, v21, 30
	global_wb scope:SCOPE_SE
	s_wait_kmcnt 0x0
	s_barrier_signal -1
	s_barrier_wait -1
	global_inv scope:SCOPE_SE
	v_add_f64_e32 v[100:101], v[2:3], v[166:167]
	v_add_f64_e32 v[104:105], v[144:145], v[52:53]
	v_add_f64_e32 v[108:109], v[10:11], v[54:55]
	v_add_f64_e32 v[102:103], v[16:17], v[168:169]
	v_add_f64_e64 v[124:125], v[144:145], -v[52:53]
	v_add_f64_e32 v[110:111], v[70:71], v[130:131]
	v_add_f64_e32 v[118:119], v[68:69], v[4:5]
	v_add_f64_e64 v[128:129], v[10:11], -v[54:55]
	v_add_f64_e64 v[126:127], v[18:19], -v[14:15]
	;; [unrolled: 1-line block ×4, first 2 shown]
	v_add_f64_e32 v[106:107], v[18:19], v[14:15]
	v_add_f64_e64 v[120:121], v[2:3], -v[166:167]
	v_add_f64_e64 v[132:133], v[6:7], -v[12:13]
	;; [unrolled: 1-line block ×3, first 2 shown]
	v_add_f64_e32 v[112:113], v[6:7], v[12:13]
	v_add_f64_e32 v[114:115], v[142:143], v[8:9]
	v_add_f64_e64 v[52:53], v[42:43], -v[50:51]
	v_add_f64_e64 v[136:137], v[0:1], -v[122:123]
	;; [unrolled: 1-line block ×11, first 2 shown]
	v_add_f64_e32 v[116:117], v[0:1], v[122:123]
	v_add_f64_e64 v[122:123], v[16:17], -v[168:169]
	v_mul_lo_u16 v0, v21, 10
	s_wait_alu 0xf1ff
	v_add_co_ci_u32_e64 v1, null, 0, 0, s20
	s_delay_alu instid0(VALU_DEP_2) | instskip(NEXT) | instid1(VALU_DEP_1)
	v_and_b32_e32 v0, 0xffff, v0
	v_lshl_add_u32 v255, v0, 4, v28
	v_mul_u32_u24_e32 v0, 10, v156
	ds_store_b128 v255, v[100:103]
	ds_store_b128 v255, v[104:107] offset:16
	ds_store_b128 v255, v[108:111] offset:32
	;; [unrolled: 1-line block ×5, first 2 shown]
	scratch_store_b32 off, v0, off offset:244 ; 4-byte Folded Spill
	ds_store_b128 v255, v[124:127] offset:96
	ds_store_b128 v255, v[128:131] offset:112
	;; [unrolled: 1-line block ×4, first 2 shown]
	s_and_saveexec_b32 s20, vcc_lo
	s_cbranch_execz .LBB0_7
; %bb.6:
	v_add_f64_e32 v[104:105], v[80:81], v[86:87]
	v_add_f64_e32 v[102:103], v[42:43], v[50:51]
	;; [unrolled: 1-line block ×10, first 2 shown]
	v_mul_u32_u24_e32 v0, 10, v156
	s_delay_alu instid0(VALU_DEP_1)
	v_lshl_add_u32 v0, v0, 4, v28
	ds_store_b128 v0, v[64:67] offset:96
	ds_store_b128 v0, v[56:59] offset:112
	ds_store_b128 v0, v[102:105]
	ds_store_b128 v0, v[98:101] offset:16
	ds_store_b128 v0, v[82:85] offset:32
	;; [unrolled: 1-line block ×7, first 2 shown]
.LBB0_7:
	s_wait_alu 0xfffe
	s_or_b32 exec_lo, exec_lo, s20
	v_and_b32_e32 v0, 0xff, v156
	global_wb scope:SCOPE_SE
	s_wait_storecnt_dscnt 0x0
	s_barrier_signal -1
	s_barrier_wait -1
	global_inv scope:SCOPE_SE
	v_mul_lo_u16 v0, 0xcd, v0
	v_add_co_u32 v164, null, v21, 60
	v_lshl_add_u32 v254, v21, 4, v28
	s_delay_alu instid0(VALU_DEP_3) | instskip(NEXT) | instid1(VALU_DEP_1)
	v_lshrrev_b16 v2, 11, v0
	v_mul_lo_u16 v0, v2, 10
	v_and_b32_e32 v2, 0xffff, v2
	s_delay_alu instid0(VALU_DEP_2) | instskip(NEXT) | instid1(VALU_DEP_2)
	v_sub_nc_u16 v0, v156, v0
	v_mul_u32_u24_e32 v2, 50, v2
	s_delay_alu instid0(VALU_DEP_2) | instskip(NEXT) | instid1(VALU_DEP_1)
	v_and_b32_e32 v3, 0xff, v0
	v_lshlrev_b32_e32 v0, 6, v3
	s_delay_alu instid0(VALU_DEP_3)
	v_add_nc_u32_e32 v2, v2, v3
	s_clause 0x2
	global_load_b128 v[22:25], v0, s[2:3]
	global_load_b128 v[10:13], v0, s[2:3] offset:16
	global_load_b128 v[14:17], v0, s[2:3] offset:32
	ds_load_b128 v[72:75], v251 offset:1920
	ds_load_b128 v[76:79], v251 offset:3360
	v_lshl_add_u32 v250, v2, 4, v28
	ds_load_b128 v[80:83], v251 offset:5760
	ds_load_b128 v[160:163], v251 offset:6720
	;; [unrolled: 1-line block ×5, first 2 shown]
	s_wait_loadcnt_dscnt 0x206
	v_mul_f64_e32 v[4:5], v[74:75], v[24:25]
	v_mul_f64_e32 v[6:7], v[72:73], v[24:25]
	s_wait_loadcnt_dscnt 0x105
	v_mul_f64_e32 v[8:9], v[78:79], v[12:13]
	scratch_store_b128 off, v[10:13], off offset:176 ; 16-byte Folded Spill
	s_wait_loadcnt 0x0
	s_clause 0x1
	scratch_store_b128 off, v[14:17], off offset:192
	scratch_store_b128 off, v[22:25], off offset:208
	v_fma_f64 v[142:143], v[72:73], v[22:23], -v[4:5]
	v_mul_f64_e32 v[4:5], v[76:77], v[12:13]
	v_fma_f64 v[140:141], v[74:75], v[22:23], v[6:7]
	ds_load_b128 v[72:75], v251 offset:4800
	v_fma_f64 v[150:151], v[76:77], v[10:11], -v[8:9]
	v_fma_f64 v[146:147], v[78:79], v[10:11], v[4:5]
	s_wait_dscnt 0x0
	v_mul_f64_e32 v[4:5], v[74:75], v[16:17]
	ds_load_b128 v[76:79], v251 offset:6240
	v_fma_f64 v[148:149], v[72:73], v[14:15], -v[4:5]
	v_mul_f64_e32 v[4:5], v[72:73], v[16:17]
	s_delay_alu instid0(VALU_DEP_2) | instskip(NEXT) | instid1(VALU_DEP_2)
	v_add_f64_e64 v[173:174], v[150:151], -v[148:149]
	v_fma_f64 v[144:145], v[74:75], v[14:15], v[4:5]
	global_load_b128 v[72:75], v0, s[2:3] offset:48
	v_and_b32_e32 v0, 0xff, v21
	s_delay_alu instid0(VALU_DEP_1) | instskip(NEXT) | instid1(VALU_DEP_1)
	v_mul_lo_u16 v0, 0xcd, v0
	v_lshrrev_b16 v0, 11, v0
	v_add_f64_e32 v[10:11], v[146:147], v[144:145]
	v_add_f64_e64 v[14:15], v[146:147], -v[144:145]
	s_wait_loadcnt_dscnt 0x0
	v_mul_f64_e32 v[4:5], v[78:79], v[74:75]
	s_delay_alu instid0(VALU_DEP_1) | instskip(SKIP_1) | instid1(VALU_DEP_2)
	v_fma_f64 v[152:153], v[76:77], v[72:73], -v[4:5]
	v_mul_f64_e32 v[4:5], v[76:77], v[74:75]
	v_add_f64_e64 v[18:19], v[142:143], -v[152:153]
	s_delay_alu instid0(VALU_DEP_2) | instskip(SKIP_3) | instid1(VALU_DEP_1)
	v_fma_f64 v[154:155], v[78:79], v[72:73], v[4:5]
	v_mul_lo_u16 v4, v0, 10
	ds_load_b128 v[76:79], v251 offset:1440
	v_sub_nc_u16 v157, v21, v4
	v_lshlrev_b16 v4, 2, v157
	v_mad_u16 v0, v0, 50, v157
	s_delay_alu instid0(VALU_DEP_2) | instskip(NEXT) | instid1(VALU_DEP_2)
	v_and_b32_e32 v4, 0xfc, v4
	v_and_b32_e32 v0, 0xff, v0
	s_delay_alu instid0(VALU_DEP_2) | instskip(NEXT) | instid1(VALU_DEP_2)
	v_lshlrev_b32_e32 v6, 4, v4
	v_lshl_add_u32 v0, v0, 4, v28
	s_clause 0x2
	global_load_b128 v[96:99], v6, s[2:3]
	global_load_b128 v[92:95], v6, s[2:3] offset:16
	global_load_b128 v[84:87], v6, s[2:3] offset:32
	v_add_f64_e64 v[8:9], v[154:155], -v[144:145]
	v_add_f64_e64 v[12:13], v[140:141], -v[154:155]
	s_wait_loadcnt_dscnt 0x200
	v_mul_f64_e32 v[4:5], v[78:79], v[98:99]
	s_delay_alu instid0(VALU_DEP_1) | instskip(SKIP_1) | instid1(VALU_DEP_1)
	v_fma_f64 v[124:125], v[76:77], v[96:97], -v[4:5]
	v_mul_f64_e32 v[4:5], v[76:77], v[98:99]
	v_fma_f64 v[126:127], v[78:79], v[96:97], v[4:5]
	ds_load_b128 v[76:79], v251 offset:2880
	s_wait_loadcnt_dscnt 0x100
	v_mul_f64_e32 v[4:5], v[78:79], v[94:95]
	s_delay_alu instid0(VALU_DEP_1) | instskip(SKIP_1) | instid1(VALU_DEP_1)
	v_fma_f64 v[128:129], v[76:77], v[92:93], -v[4:5]
	v_mul_f64_e32 v[4:5], v[76:77], v[94:95]
	v_fma_f64 v[130:131], v[78:79], v[92:93], v[4:5]
	ds_load_b128 v[76:79], v251 offset:4320
	s_wait_loadcnt_dscnt 0x0
	v_mul_f64_e32 v[4:5], v[78:79], v[86:87]
	s_delay_alu instid0(VALU_DEP_1) | instskip(SKIP_1) | instid1(VALU_DEP_1)
	v_fma_f64 v[134:135], v[76:77], v[84:85], -v[4:5]
	v_mul_f64_e32 v[4:5], v[76:77], v[86:87]
	v_fma_f64 v[132:133], v[78:79], v[84:85], v[4:5]
	global_load_b128 v[76:79], v6, s[2:3] offset:48
	s_wait_loadcnt 0x0
	v_mul_f64_e32 v[4:5], v[82:83], v[78:79]
	s_delay_alu instid0(VALU_DEP_1) | instskip(SKIP_1) | instid1(VALU_DEP_2)
	v_fma_f64 v[136:137], v[80:81], v[76:77], -v[4:5]
	v_mul_f64_e32 v[4:5], v[80:81], v[78:79]
	v_add_f64_e64 v[177:178], v[124:125], -v[136:137]
	s_delay_alu instid0(VALU_DEP_2) | instskip(SKIP_1) | instid1(VALU_DEP_1)
	v_fma_f64 v[138:139], v[82:83], v[76:77], v[4:5]
	v_and_b32_e32 v4, 0xff, v164
	v_mul_lo_u16 v4, 0xcd, v4
	s_delay_alu instid0(VALU_DEP_1) | instskip(NEXT) | instid1(VALU_DEP_1)
	v_lshrrev_b16 v158, 11, v4
	v_mul_lo_u16 v4, v158, 10
	v_and_b32_e32 v2, 0xffff, v158
	s_delay_alu instid0(VALU_DEP_2) | instskip(NEXT) | instid1(VALU_DEP_2)
	v_sub_nc_u16 v4, v164, v4
	v_mul_u32_u24_e32 v2, 50, v2
	s_delay_alu instid0(VALU_DEP_2) | instskip(NEXT) | instid1(VALU_DEP_1)
	v_and_b32_e32 v159, 0xff, v4
	v_lshlrev_b32_e32 v6, 6, v159
	s_delay_alu instid0(VALU_DEP_3) | instskip(SKIP_4) | instid1(VALU_DEP_1)
	v_add_nc_u32_e32 v2, v2, v159
	global_load_b128 v[80:83], v6, s[2:3]
	v_lshl_add_u32 v2, v2, 4, v28
	s_wait_loadcnt 0x0
	v_mul_f64_e32 v[4:5], v[90:91], v[82:83]
	v_fma_f64 v[108:109], v[88:89], v[80:81], -v[4:5]
	v_mul_f64_e32 v[4:5], v[88:89], v[82:83]
	s_delay_alu instid0(VALU_DEP_1) | instskip(SKIP_3) | instid1(VALU_DEP_1)
	v_fma_f64 v[110:111], v[90:91], v[80:81], v[4:5]
	global_load_b128 v[88:91], v6, s[2:3] offset:16
	s_wait_loadcnt 0x0
	v_mul_f64_e32 v[4:5], v[102:103], v[90:91]
	v_fma_f64 v[112:113], v[100:101], v[88:89], -v[4:5]
	v_mul_f64_e32 v[4:5], v[100:101], v[90:91]
	s_delay_alu instid0(VALU_DEP_1) | instskip(SKIP_3) | instid1(VALU_DEP_1)
	v_fma_f64 v[114:115], v[102:103], v[88:89], v[4:5]
	global_load_b128 v[100:103], v6, s[2:3] offset:32
	s_wait_loadcnt 0x0
	v_mul_f64_e32 v[4:5], v[106:107], v[102:103]
	v_fma_f64 v[118:119], v[104:105], v[100:101], -v[4:5]
	v_mul_f64_e32 v[4:5], v[104:105], v[102:103]
	s_delay_alu instid0(VALU_DEP_1) | instskip(SKIP_4) | instid1(VALU_DEP_1)
	v_fma_f64 v[116:117], v[106:107], v[100:101], v[4:5]
	global_load_b128 v[104:107], v6, s[2:3] offset:48
	v_add_f64_e64 v[6:7], v[152:153], -v[148:149]
	s_wait_loadcnt 0x0
	v_mul_f64_e32 v[4:5], v[162:163], v[106:107]
	v_fma_f64 v[120:121], v[160:161], v[104:105], -v[4:5]
	v_mul_f64_e32 v[4:5], v[160:161], v[106:107]
	s_delay_alu instid0(VALU_DEP_2) | instskip(NEXT) | instid1(VALU_DEP_2)
	v_add_f64_e64 v[181:182], v[108:109], -v[120:121]
	v_fma_f64 v[122:123], v[162:163], v[104:105], v[4:5]
	v_add_f64_e64 v[4:5], v[142:143], -v[150:151]
	ds_load_b128 v[160:163], v251 offset:480
	s_wait_dscnt 0x0
	v_fma_f64 v[10:11], v[10:11], -0.5, v[162:163]
	v_add_f64_e32 v[4:5], v[4:5], v[6:7]
	v_add_f64_e64 v[6:7], v[140:141], -v[146:147]
	s_delay_alu instid0(VALU_DEP_3) | instskip(SKIP_1) | instid1(VALU_DEP_3)
	v_fma_f64 v[165:166], v[18:19], s[18:19], v[10:11]
	v_fma_f64 v[10:11], v[18:19], s[0:1], v[10:11]
	v_add_f64_e32 v[6:7], v[6:7], v[8:9]
	v_add_f64_e32 v[8:9], v[150:151], v[148:149]
	s_delay_alu instid0(VALU_DEP_4) | instskip(NEXT) | instid1(VALU_DEP_4)
	v_fma_f64 v[167:168], v[173:174], s[16:17], v[165:166]
	v_fma_f64 v[10:11], v[173:174], s[14:15], v[10:11]
	s_delay_alu instid0(VALU_DEP_3) | instskip(NEXT) | instid1(VALU_DEP_3)
	v_fma_f64 v[8:9], v[8:9], -0.5, v[160:161]
	v_fma_f64 v[167:168], v[6:7], s[8:9], v[167:168]
	s_delay_alu instid0(VALU_DEP_3) | instskip(SKIP_4) | instid1(VALU_DEP_4)
	v_fma_f64 v[171:172], v[6:7], s[8:9], v[10:11]
	v_add_f64_e32 v[10:11], v[162:163], v[140:141]
	v_add_f64_e32 v[6:7], v[140:141], v[154:155]
	v_fma_f64 v[16:17], v[12:13], s[0:1], v[8:9]
	v_fma_f64 v[8:9], v[12:13], s[18:19], v[8:9]
	v_add_f64_e32 v[10:11], v[10:11], v[146:147]
	s_delay_alu instid0(VALU_DEP_4) | instskip(SKIP_4) | instid1(VALU_DEP_3)
	v_fma_f64 v[6:7], v[6:7], -0.5, v[162:163]
	v_add_f64_e64 v[146:147], v[146:147], -v[140:141]
	v_fma_f64 v[16:17], v[14:15], s[14:15], v[16:17]
	v_fma_f64 v[8:9], v[14:15], s[16:17], v[8:9]
	v_add_f64_e32 v[10:11], v[10:11], v[144:145]
	v_fma_f64 v[165:166], v[4:5], s[8:9], v[16:17]
	s_delay_alu instid0(VALU_DEP_3) | instskip(SKIP_4) | instid1(VALU_DEP_4)
	v_fma_f64 v[169:170], v[4:5], s[8:9], v[8:9]
	v_add_f64_e32 v[8:9], v[160:161], v[142:143]
	v_add_f64_e32 v[4:5], v[142:143], v[152:153]
	v_add_f64_e64 v[16:17], v[150:151], -v[142:143]
	v_add_f64_e32 v[142:143], v[10:11], v[154:155]
	v_add_f64_e32 v[8:9], v[8:9], v[150:151]
	s_delay_alu instid0(VALU_DEP_4) | instskip(NEXT) | instid1(VALU_DEP_2)
	v_fma_f64 v[4:5], v[4:5], -0.5, v[160:161]
	v_add_f64_e32 v[8:9], v[8:9], v[148:149]
	v_add_f64_e64 v[148:149], v[148:149], -v[152:153]
	s_delay_alu instid0(VALU_DEP_3)
	v_fma_f64 v[10:11], v[14:15], s[18:19], v[4:5]
	v_fma_f64 v[4:5], v[14:15], s[0:1], v[4:5]
	;; [unrolled: 1-line block ×4, first 2 shown]
	v_add_f64_e32 v[140:141], v[8:9], v[152:153]
	v_add_f64_e64 v[8:9], v[144:145], -v[154:155]
	v_add_f64_e32 v[16:17], v[16:17], v[148:149]
	v_fma_f64 v[4:5], v[12:13], s[16:17], v[4:5]
	v_fma_f64 v[10:11], v[12:13], s[14:15], v[10:11]
	;; [unrolled: 1-line block ×4, first 2 shown]
	ds_load_b128 v[152:155], v251
	v_add_f64_e64 v[18:19], v[128:129], -v[134:135]
	v_add_f64_e64 v[14:15], v[126:127], -v[138:139]
	v_add_f64_e32 v[8:9], v[146:147], v[8:9]
	v_fma_f64 v[148:149], v[16:17], s[8:9], v[4:5]
	v_add_f64_e64 v[4:5], v[128:129], -v[124:125]
	v_fma_f64 v[144:145], v[16:17], s[8:9], v[10:11]
	v_add_f64_e32 v[10:11], v[126:127], v[138:139]
	v_fma_f64 v[150:151], v[8:9], s[8:9], v[6:7]
	v_add_f64_e64 v[6:7], v[134:135], -v[136:137]
	v_fma_f64 v[146:147], v[8:9], s[8:9], v[12:13]
	v_add_f64_e64 v[8:9], v[132:133], -v[138:139]
	v_add_f64_e64 v[12:13], v[130:131], -v[132:133]
	s_wait_dscnt 0x0
	v_fma_f64 v[10:11], v[10:11], -0.5, v[154:155]
	v_add_f64_e32 v[4:5], v[4:5], v[6:7]
	v_add_f64_e64 v[6:7], v[130:131], -v[126:127]
	s_delay_alu instid0(VALU_DEP_3) | instskip(SKIP_1) | instid1(VALU_DEP_3)
	v_fma_f64 v[160:161], v[18:19], s[0:1], v[10:11]
	v_fma_f64 v[10:11], v[18:19], s[18:19], v[10:11]
	v_add_f64_e32 v[6:7], v[6:7], v[8:9]
	v_add_f64_e32 v[8:9], v[124:125], v[136:137]
	s_delay_alu instid0(VALU_DEP_4) | instskip(NEXT) | instid1(VALU_DEP_4)
	v_fma_f64 v[162:163], v[177:178], s[16:17], v[160:161]
	v_fma_f64 v[10:11], v[177:178], s[14:15], v[10:11]
	s_delay_alu instid0(VALU_DEP_3) | instskip(NEXT) | instid1(VALU_DEP_3)
	v_fma_f64 v[8:9], v[8:9], -0.5, v[152:153]
	v_fma_f64 v[162:163], v[6:7], s[8:9], v[162:163]
	s_delay_alu instid0(VALU_DEP_3) | instskip(SKIP_4) | instid1(VALU_DEP_4)
	v_fma_f64 v[175:176], v[6:7], s[8:9], v[10:11]
	v_add_f64_e32 v[10:11], v[154:155], v[126:127]
	v_add_f64_e32 v[6:7], v[130:131], v[132:133]
	v_fma_f64 v[16:17], v[12:13], s[18:19], v[8:9]
	v_fma_f64 v[8:9], v[12:13], s[0:1], v[8:9]
	v_add_f64_e32 v[10:11], v[10:11], v[130:131]
	s_delay_alu instid0(VALU_DEP_4) | instskip(NEXT) | instid1(VALU_DEP_4)
	v_fma_f64 v[6:7], v[6:7], -0.5, v[154:155]
	v_fma_f64 v[16:17], v[14:15], s[14:15], v[16:17]
	s_delay_alu instid0(VALU_DEP_4) | instskip(NEXT) | instid1(VALU_DEP_4)
	v_fma_f64 v[8:9], v[14:15], s[16:17], v[8:9]
	v_add_f64_e32 v[10:11], v[10:11], v[132:133]
	s_delay_alu instid0(VALU_DEP_3) | instskip(NEXT) | instid1(VALU_DEP_3)
	v_fma_f64 v[160:161], v[4:5], s[8:9], v[16:17]
	v_fma_f64 v[173:174], v[4:5], s[8:9], v[8:9]
	v_add_f64_e32 v[8:9], v[152:153], v[124:125]
	v_add_f64_e32 v[4:5], v[128:129], v[134:135]
	v_add_f64_e64 v[16:17], v[124:125], -v[128:129]
	s_delay_alu instid0(VALU_DEP_3) | instskip(NEXT) | instid1(VALU_DEP_3)
	v_add_f64_e32 v[8:9], v[8:9], v[128:129]
	v_fma_f64 v[4:5], v[4:5], -0.5, v[152:153]
	v_add_f64_e64 v[128:129], v[126:127], -v[130:131]
	v_add_f64_e64 v[130:131], v[136:137], -v[134:135]
	v_add_f64_e32 v[126:127], v[10:11], v[138:139]
	v_add_f64_e32 v[8:9], v[8:9], v[134:135]
	v_fma_f64 v[10:11], v[14:15], s[0:1], v[4:5]
	v_fma_f64 v[4:5], v[14:15], s[18:19], v[4:5]
	;; [unrolled: 1-line block ×4, first 2 shown]
	v_add_f64_e32 v[16:17], v[16:17], v[130:131]
	v_add_f64_e32 v[124:125], v[8:9], v[136:137]
	v_add_f64_e64 v[8:9], v[138:139], -v[132:133]
	v_fma_f64 v[4:5], v[12:13], s[16:17], v[4:5]
	v_fma_f64 v[10:11], v[12:13], s[14:15], v[10:11]
	;; [unrolled: 1-line block ×4, first 2 shown]
	ds_load_b128 v[136:139], v251 offset:960
	v_add_f64_e64 v[18:19], v[112:113], -v[118:119]
	v_add_f64_e64 v[14:15], v[110:111], -v[122:123]
	global_wb scope:SCOPE_SE
	s_wait_storecnt_dscnt 0x0
	s_barrier_signal -1
	s_barrier_wait -1
	global_inv scope:SCOPE_SE
	v_add_f64_e32 v[8:9], v[128:129], v[8:9]
	v_fma_f64 v[132:133], v[16:17], s[8:9], v[4:5]
	v_add_f64_e64 v[4:5], v[112:113], -v[108:109]
	v_fma_f64 v[128:129], v[16:17], s[8:9], v[10:11]
	v_add_f64_e32 v[10:11], v[110:111], v[122:123]
	v_fma_f64 v[134:135], v[8:9], s[8:9], v[6:7]
	v_add_f64_e64 v[6:7], v[118:119], -v[120:121]
	v_fma_f64 v[130:131], v[8:9], s[8:9], v[12:13]
	v_add_f64_e64 v[8:9], v[116:117], -v[122:123]
	v_fma_f64 v[10:11], v[10:11], -0.5, v[138:139]
	v_add_f64_e64 v[12:13], v[114:115], -v[116:117]
	ds_store_b128 v0, v[124:127]
	ds_store_b128 v0, v[128:131] offset:160
	ds_store_b128 v0, v[160:163] offset:320
	;; [unrolled: 1-line block ×4, first 2 shown]
	v_add_f64_e32 v[4:5], v[4:5], v[6:7]
	v_add_f64_e64 v[6:7], v[114:115], -v[110:111]
	v_fma_f64 v[152:153], v[18:19], s[0:1], v[10:11]
	v_fma_f64 v[10:11], v[18:19], s[18:19], v[10:11]
	ds_store_b128 v250, v[140:143]
	ds_store_b128 v250, v[165:168] offset:160
	ds_store_b128 v250, v[144:147] offset:320
	;; [unrolled: 1-line block ×4, first 2 shown]
	v_add_co_u32 v172, null, 0x5a, v21
	v_add_f64_e32 v[6:7], v[6:7], v[8:9]
	v_add_f64_e32 v[8:9], v[108:109], v[120:121]
	v_fma_f64 v[10:11], v[181:182], s[14:15], v[10:11]
	v_fma_f64 v[154:155], v[181:182], s[16:17], v[152:153]
	s_delay_alu instid0(VALU_DEP_3) | instskip(NEXT) | instid1(VALU_DEP_3)
	v_fma_f64 v[8:9], v[8:9], -0.5, v[136:137]
	v_fma_f64 v[179:180], v[6:7], s[8:9], v[10:11]
	v_add_f64_e32 v[10:11], v[138:139], v[110:111]
	s_delay_alu instid0(VALU_DEP_4) | instskip(SKIP_4) | instid1(VALU_DEP_4)
	v_fma_f64 v[154:155], v[6:7], s[8:9], v[154:155]
	v_add_f64_e32 v[6:7], v[114:115], v[116:117]
	v_fma_f64 v[16:17], v[12:13], s[18:19], v[8:9]
	v_fma_f64 v[8:9], v[12:13], s[0:1], v[8:9]
	v_add_f64_e32 v[10:11], v[10:11], v[114:115]
	v_fma_f64 v[6:7], v[6:7], -0.5, v[138:139]
	s_delay_alu instid0(VALU_DEP_4) | instskip(NEXT) | instid1(VALU_DEP_4)
	v_fma_f64 v[16:17], v[14:15], s[14:15], v[16:17]
	v_fma_f64 v[8:9], v[14:15], s[16:17], v[8:9]
	s_delay_alu instid0(VALU_DEP_4) | instskip(NEXT) | instid1(VALU_DEP_3)
	v_add_f64_e32 v[10:11], v[10:11], v[116:117]
	v_fma_f64 v[152:153], v[4:5], s[8:9], v[16:17]
	s_delay_alu instid0(VALU_DEP_3) | instskip(SKIP_3) | instid1(VALU_DEP_3)
	v_fma_f64 v[177:178], v[4:5], s[8:9], v[8:9]
	v_add_f64_e32 v[8:9], v[136:137], v[108:109]
	v_add_f64_e32 v[4:5], v[112:113], v[118:119]
	v_add_f64_e64 v[16:17], v[108:109], -v[112:113]
	v_add_f64_e32 v[8:9], v[8:9], v[112:113]
	s_delay_alu instid0(VALU_DEP_3)
	v_fma_f64 v[4:5], v[4:5], -0.5, v[136:137]
	v_add_f64_e64 v[112:113], v[110:111], -v[114:115]
	v_add_f64_e64 v[114:115], v[120:121], -v[118:119]
	v_add_f64_e32 v[110:111], v[10:11], v[122:123]
	v_add_f64_e32 v[8:9], v[8:9], v[118:119]
	v_fma_f64 v[10:11], v[14:15], s[0:1], v[4:5]
	v_fma_f64 v[4:5], v[14:15], s[18:19], v[4:5]
	;; [unrolled: 1-line block ×4, first 2 shown]
	v_add_f64_e32 v[16:17], v[16:17], v[114:115]
	v_cmp_gt_u16_e64 s0, 20, v21
	v_add_f64_e32 v[108:109], v[8:9], v[120:121]
	v_add_f64_e64 v[8:9], v[122:123], -v[116:117]
	v_fma_f64 v[10:11], v[12:13], s[14:15], v[10:11]
	v_fma_f64 v[4:5], v[12:13], s[16:17], v[4:5]
	;; [unrolled: 1-line block ×4, first 2 shown]
	s_mov_b32 s15, 0xbfebb67a
	v_add_f64_e32 v[8:9], v[112:113], v[8:9]
	v_fma_f64 v[112:113], v[16:17], s[8:9], v[10:11]
	v_fma_f64 v[116:117], v[16:17], s[8:9], v[4:5]
	s_delay_alu instid0(VALU_DEP_3)
	v_fma_f64 v[114:115], v[8:9], s[8:9], v[12:13]
	v_fma_f64 v[118:119], v[8:9], s[8:9], v[6:7]
	ds_store_b128 v2, v[108:111]
	ds_store_b128 v2, v[112:115] offset:160
	ds_store_b128 v2, v[152:155] offset:320
	;; [unrolled: 1-line block ×3, first 2 shown]
	v_lshlrev_b32_e32 v152, 5, v21
	scratch_store_b32 off, v2, off offset:224 ; 4-byte Folded Spill
	ds_store_b128 v2, v[116:119] offset:640
	global_wb scope:SCOPE_SE
	s_wait_storecnt_dscnt 0x0
	s_barrier_signal -1
	s_barrier_wait -1
	global_inv scope:SCOPE_SE
	global_load_b128 v[108:111], v152, s[2:3] offset:640
	ds_load_b128 v[112:115], v251 offset:2400
	ds_load_b128 v[217:220], v251 offset:1920
	ds_load_b128 v[116:119], v251 offset:4800
	ds_load_b128 v[136:139], v251 offset:3840
	ds_load_b128 v[120:123], v251 offset:2880
	ds_load_b128 v[128:131], v251 offset:3360
	ds_load_b128 v[124:127], v251 offset:5280
	ds_load_b128 v[132:135], v251 offset:5760
	v_add_co_u32 v180, null, 0x78, v21
	s_mov_b32 s8, 0xe8584caa
	s_mov_b32 s9, 0x3febb67a
	s_wait_alu 0xfffe
	s_mov_b32 s14, s8
	ds_load_b128 v[193:196], v251 offset:960
	ds_load_b128 v[205:208], v251 offset:1440
	v_lshlrev_b32_e32 v22, 5, v180
	ds_load_b128 v[181:184], v251 offset:480
	s_wait_loadcnt_dscnt 0xa
	v_mul_f64_e32 v[2:3], v[114:115], v[110:111]
	v_mul_f64_e32 v[5:6], v[112:113], v[110:111]
	s_delay_alu instid0(VALU_DEP_2) | instskip(NEXT) | instid1(VALU_DEP_2)
	v_fma_f64 v[3:4], v[112:113], v[108:109], -v[2:3]
	v_fma_f64 v[5:6], v[114:115], v[108:109], v[5:6]
	global_load_b128 v[112:115], v152, s[2:3] offset:656
	v_add_co_u32 v2, s1, 0xffffffec, v21
	s_wait_alu 0xf1ff
	v_add_co_ci_u32_e64 v11, null, 0, -1, s1
	s_delay_alu instid0(VALU_DEP_2) | instskip(NEXT) | instid1(VALU_DEP_2)
	v_cndmask_b32_e64 v148, v2, v156, s0
	v_cndmask_b32_e64 v149, v11, v1, s0
	s_delay_alu instid0(VALU_DEP_1) | instskip(NEXT) | instid1(VALU_DEP_1)
	v_lshlrev_b64_e32 v[1:2], 5, v[148:149]
	v_add_co_u32 v1, s0, s2, v1
	s_wait_alu 0xf1ff
	s_delay_alu instid0(VALU_DEP_2) | instskip(SKIP_4) | instid1(VALU_DEP_2)
	v_add_co_ci_u32_e64 v2, s0, s3, v2, s0
	v_cmp_lt_u16_e64 s0, 19, v21
	s_wait_loadcnt_dscnt 0x8
	v_mul_f64_e32 v[7:8], v[118:119], v[114:115]
	v_mul_f64_e32 v[9:10], v[116:117], v[114:115]
	v_fma_f64 v[7:8], v[116:117], v[112:113], -v[7:8]
	s_delay_alu instid0(VALU_DEP_2) | instskip(SKIP_4) | instid1(VALU_DEP_2)
	v_fma_f64 v[9:10], v[118:119], v[112:113], v[9:10]
	global_load_b128 v[116:119], v[1:2], off offset:640
	s_wait_loadcnt_dscnt 0x6
	v_mul_f64_e32 v[11:12], v[122:123], v[118:119]
	v_mul_f64_e32 v[13:14], v[120:121], v[118:119]
	v_fma_f64 v[11:12], v[120:121], v[116:117], -v[11:12]
	s_delay_alu instid0(VALU_DEP_2) | instskip(SKIP_3) | instid1(VALU_DEP_1)
	v_fma_f64 v[13:14], v[122:123], v[116:117], v[13:14]
	global_load_b128 v[120:123], v[1:2], off offset:656
	s_wait_loadcnt_dscnt 0x4
	v_mul_f64_e32 v[1:2], v[126:127], v[122:123]
	v_fma_f64 v[15:16], v[124:125], v[120:121], -v[1:2]
	v_mul_f64_e32 v[1:2], v[124:125], v[122:123]
	s_delay_alu instid0(VALU_DEP_1) | instskip(SKIP_3) | instid1(VALU_DEP_1)
	v_fma_f64 v[17:18], v[126:127], v[120:121], v[1:2]
	global_load_b128 v[124:127], v152, s[2:3] offset:960
	s_wait_loadcnt 0x0
	v_mul_f64_e32 v[1:2], v[130:131], v[126:127]
	v_fma_f64 v[150:151], v[128:129], v[124:125], -v[1:2]
	v_mul_f64_e32 v[1:2], v[128:129], v[126:127]
	s_delay_alu instid0(VALU_DEP_1) | instskip(SKIP_3) | instid1(VALU_DEP_1)
	v_fma_f64 v[153:154], v[130:131], v[124:125], v[1:2]
	global_load_b128 v[128:131], v152, s[2:3] offset:976
	s_wait_loadcnt_dscnt 0x3
	v_mul_f64_e32 v[1:2], v[134:135], v[130:131]
	v_fma_f64 v[161:162], v[132:133], v[128:129], -v[1:2]
	v_mul_f64_e32 v[1:2], v[132:133], v[130:131]
	s_delay_alu instid0(VALU_DEP_1) | instskip(SKIP_1) | instid1(VALU_DEP_1)
	v_fma_f64 v[169:170], v[134:135], v[128:129], v[1:2]
	v_and_b32_e32 v1, 0xff, v172
	v_mul_lo_u16 v1, v1, 41
	s_delay_alu instid0(VALU_DEP_1) | instskip(NEXT) | instid1(VALU_DEP_1)
	v_lshrrev_b16 v1, 11, v1
	v_mul_lo_u16 v2, v1, 50
	v_and_b32_e32 v1, 0xffff, v1
	s_delay_alu instid0(VALU_DEP_2) | instskip(NEXT) | instid1(VALU_DEP_2)
	v_sub_nc_u16 v2, v172, v2
	v_mul_u32_u24_e32 v1, 0x96, v1
	s_delay_alu instid0(VALU_DEP_2) | instskip(NEXT) | instid1(VALU_DEP_1)
	v_and_b32_e32 v2, 0xff, v2
	v_lshlrev_b32_e32 v19, 5, v2
	s_delay_alu instid0(VALU_DEP_3) | instskip(SKIP_4) | instid1(VALU_DEP_1)
	v_add_nc_u32_e32 v1, v1, v2
	global_load_b128 v[132:135], v19, s[2:3] offset:640
	v_lshl_add_u32 v1, v1, 4, v28
	s_wait_loadcnt 0x0
	v_mul_f64_e32 v[140:141], v[138:139], v[134:135]
	v_fma_f64 v[177:178], v[136:137], v[132:133], -v[140:141]
	v_mul_f64_e32 v[136:137], v[136:137], v[134:135]
	ds_load_b128 v[140:143], v251 offset:6240
	v_fma_f64 v[209:210], v[138:139], v[132:133], v[136:137]
	global_load_b128 v[136:139], v19, s[2:3] offset:656
	v_and_b32_e32 v19, 0xff, v180
	s_delay_alu instid0(VALU_DEP_1) | instskip(NEXT) | instid1(VALU_DEP_1)
	v_mul_lo_u16 v19, v19, 41
	v_lshrrev_b16 v19, 11, v19
	s_delay_alu instid0(VALU_DEP_1) | instskip(NEXT) | instid1(VALU_DEP_1)
	v_mul_lo_u16 v19, v19, 50
	v_sub_nc_u16 v19, v180, v19
	s_delay_alu instid0(VALU_DEP_1) | instskip(NEXT) | instid1(VALU_DEP_1)
	v_and_b32_e32 v149, 0xff, v19
	v_lshlrev_b32_e32 v19, 5, v149
	s_wait_loadcnt_dscnt 0x0
	v_mul_f64_e32 v[144:145], v[142:143], v[138:139]
	s_delay_alu instid0(VALU_DEP_1)
	v_fma_f64 v[211:212], v[140:141], v[136:137], -v[144:145]
	v_mul_f64_e32 v[140:141], v[140:141], v[138:139]
	ds_load_b128 v[144:147], v251 offset:4320
	v_fma_f64 v[213:214], v[142:143], v[136:137], v[140:141]
	global_load_b128 v[140:143], v19, s[2:3] offset:640
	s_wait_loadcnt_dscnt 0x0
	v_mul_f64_e32 v[157:158], v[146:147], v[142:143]
	s_delay_alu instid0(VALU_DEP_1)
	v_fma_f64 v[221:222], v[144:145], v[140:141], -v[157:158]
	v_mul_f64_e32 v[144:145], v[144:145], v[142:143]
	ds_load_b128 v[157:160], v251 offset:6720
	v_fma_f64 v[223:224], v[146:147], v[140:141], v[144:145]
	global_load_b128 v[144:147], v19, s[2:3] offset:656
	s_wait_loadcnt_dscnt 0x0
	v_mul_f64_e32 v[165:166], v[159:160], v[146:147]
	s_delay_alu instid0(VALU_DEP_1) | instskip(SKIP_2) | instid1(VALU_DEP_2)
	v_fma_f64 v[225:226], v[157:158], v[144:145], -v[165:166]
	v_mul_f64_e32 v[157:158], v[157:158], v[146:147]
	v_add_f64_e32 v[165:166], v[3:4], v[7:8]
	v_fma_f64 v[227:228], v[159:160], v[144:145], v[157:158]
	ds_load_b128 v[157:160], v251
	global_wb scope:SCOPE_SE
	s_wait_dscnt 0x0
	s_barrier_signal -1
	s_barrier_wait -1
	global_inv scope:SCOPE_SE
	v_fma_f64 v[167:168], v[165:166], -0.5, v[157:158]
	v_add_f64_e32 v[165:166], v[5:6], v[9:10]
	v_add_f64_e32 v[157:158], v[157:158], v[3:4]
	v_add_f64_e64 v[3:4], v[3:4], -v[7:8]
	s_delay_alu instid0(VALU_DEP_3) | instskip(SKIP_4) | instid1(VALU_DEP_4)
	v_fma_f64 v[175:176], v[165:166], -0.5, v[159:160]
	v_add_f64_e32 v[159:160], v[159:160], v[5:6]
	v_add_f64_e64 v[5:6], v[5:6], -v[9:10]
	v_add_f64_e32 v[157:158], v[157:158], v[7:8]
	v_add_f64_e32 v[7:8], v[183:184], v[13:14]
	;; [unrolled: 1-line block ×3, first 2 shown]
	s_delay_alu instid0(VALU_DEP_4)
	v_fma_f64 v[165:166], v[5:6], s[8:9], v[167:168]
	s_wait_alu 0xfffe
	v_fma_f64 v[173:174], v[5:6], s[14:15], v[167:168]
	v_fma_f64 v[167:168], v[3:4], s[14:15], v[175:176]
	v_fma_f64 v[175:176], v[3:4], s[8:9], v[175:176]
	v_add_f64_e32 v[3:4], v[11:12], v[15:16]
	v_add_f64_e32 v[5:6], v[13:14], v[17:18]
	v_add_f64_e64 v[13:14], v[13:14], -v[17:18]
	v_add_f64_e32 v[9:10], v[181:182], v[11:12]
	ds_store_b128 v251, v[157:160]
	ds_store_b128 v251, v[165:168] offset:800
	ds_store_b128 v251, v[173:176] offset:1600
	v_fma_f64 v[3:4], v[3:4], -0.5, v[181:182]
	v_fma_f64 v[5:6], v[5:6], -0.5, v[183:184]
	v_add_f64_e32 v[183:184], v[7:8], v[17:18]
	v_add_f64_e64 v[7:8], v[11:12], -v[15:16]
	v_add_f64_e64 v[11:12], v[153:154], -v[169:170]
	v_add_f64_e32 v[181:182], v[9:10], v[15:16]
	v_add_f64_e32 v[9:10], v[193:194], v[150:151]
	v_lshlrev_b32_e32 v17, 5, v164
	v_fma_f64 v[185:186], v[13:14], s[8:9], v[3:4]
	v_fma_f64 v[189:190], v[13:14], s[14:15], v[3:4]
	v_add_f64_e32 v[3:4], v[150:151], v[161:162]
	v_fma_f64 v[187:188], v[7:8], s[14:15], v[5:6]
	v_fma_f64 v[191:192], v[7:8], s[8:9], v[5:6]
	v_add_f64_e32 v[5:6], v[153:154], v[169:170]
	v_add_f64_e32 v[7:8], v[195:196], v[153:154]
	v_lshlrev_b32_e32 v13, 5, v156
	v_fma_f64 v[3:4], v[3:4], -0.5, v[193:194]
	v_add_f64_e32 v[193:194], v[9:10], v[161:162]
	v_add_f64_e32 v[9:10], v[205:206], v[177:178]
	v_fma_f64 v[5:6], v[5:6], -0.5, v[195:196]
	v_add_f64_e32 v[195:196], v[7:8], v[169:170]
	v_add_f64_e64 v[7:8], v[150:151], -v[161:162]
	v_fma_f64 v[197:198], v[11:12], s[8:9], v[3:4]
	v_fma_f64 v[201:202], v[11:12], s[14:15], v[3:4]
	v_add_f64_e32 v[3:4], v[177:178], v[211:212]
	v_add_f64_e64 v[11:12], v[209:210], -v[213:214]
	v_fma_f64 v[199:200], v[7:8], s[14:15], v[5:6]
	v_fma_f64 v[203:204], v[7:8], s[8:9], v[5:6]
	v_add_f64_e32 v[5:6], v[209:210], v[213:214]
	v_add_f64_e32 v[7:8], v[207:208], v[209:210]
	v_fma_f64 v[3:4], v[3:4], -0.5, v[205:206]
	v_add_f64_e32 v[205:206], v[9:10], v[211:212]
	v_add_f64_e32 v[9:10], v[217:218], v[221:222]
	v_fma_f64 v[5:6], v[5:6], -0.5, v[207:208]
	v_add_f64_e32 v[207:208], v[7:8], v[213:214]
	v_add_f64_e64 v[7:8], v[177:178], -v[211:212]
	v_fma_f64 v[209:210], v[11:12], s[8:9], v[3:4]
	v_fma_f64 v[213:214], v[11:12], s[14:15], v[3:4]
	v_add_f64_e32 v[3:4], v[221:222], v[225:226]
	v_add_f64_e64 v[11:12], v[223:224], -v[227:228]
	v_fma_f64 v[211:212], v[7:8], s[14:15], v[5:6]
	v_fma_f64 v[215:216], v[7:8], s[8:9], v[5:6]
	v_add_f64_e32 v[5:6], v[223:224], v[227:228]
	v_add_f64_e32 v[7:8], v[219:220], v[223:224]
	v_fma_f64 v[3:4], v[3:4], -0.5, v[217:218]
	v_add_f64_e32 v[217:218], v[9:10], v[225:226]
	s_delay_alu instid0(VALU_DEP_4) | instskip(NEXT) | instid1(VALU_DEP_4)
	v_fma_f64 v[5:6], v[5:6], -0.5, v[219:220]
	v_add_f64_e32 v[219:220], v[7:8], v[227:228]
	v_add_f64_e64 v[7:8], v[221:222], -v[225:226]
	v_fma_f64 v[225:226], v[11:12], s[14:15], v[3:4]
	v_fma_f64 v[221:222], v[11:12], s[8:9], v[3:4]
	s_wait_alu 0xf1ff
	v_cndmask_b32_e64 v3, 0, 0x96, s0
	s_add_nc_u64 s[0:1], s[12:13], 0x1c20
	s_delay_alu instid0(VALU_DEP_1) | instskip(SKIP_2) | instid1(VALU_DEP_3)
	v_add_nc_u32_e32 v3, v148, v3
	v_fma_f64 v[227:228], v[7:8], s[8:9], v[5:6]
	v_fma_f64 v[223:224], v[7:8], s[14:15], v[5:6]
	v_lshl_add_u32 v3, v3, 4, v28
	ds_store_b128 v3, v[181:184]
	ds_store_b128 v3, v[185:188] offset:800
	scratch_store_b32 off, v3, off offset:236 ; 4-byte Folded Spill
	ds_store_b128 v3, v[189:192] offset:1600
	ds_store_b128 v251, v[193:196] offset:2560
	;; [unrolled: 1-line block ×4, first 2 shown]
	ds_store_b128 v1, v[205:208]
	ds_store_b128 v1, v[209:212] offset:800
	scratch_store_b32 off, v1, off offset:232 ; 4-byte Folded Spill
	ds_store_b128 v1, v[213:216] offset:1600
	v_lshl_add_u32 v1, v149, 4, v28
	ds_store_b128 v1, v[217:220] offset:4800
	ds_store_b128 v1, v[221:224] offset:5600
	scratch_store_b32 off, v1, off offset:228 ; 4-byte Folded Spill
	ds_store_b128 v1, v[225:228] offset:6400
	global_wb scope:SCOPE_SE
	s_wait_storecnt_dscnt 0x0
	s_barrier_signal -1
	s_barrier_wait -1
	global_inv scope:SCOPE_SE
	s_clause 0x1
	global_load_b128 v[148:151], v152, s[2:3] offset:2240
	global_load_b128 v[152:155], v152, s[2:3] offset:2256
	ds_load_b128 v[157:160], v251 offset:2400
	ds_load_b128 v[165:168], v251 offset:5280
	scratch_store_b32 off, v28, off offset:240 ; 4-byte Folded Spill
	s_wait_loadcnt_dscnt 0x101
	v_mul_f64_e32 v[1:2], v[159:160], v[150:151]
	v_mul_f64_e32 v[3:4], v[157:158], v[150:151]
	s_delay_alu instid0(VALU_DEP_2) | instskip(NEXT) | instid1(VALU_DEP_2)
	v_fma_f64 v[1:2], v[157:158], v[148:149], -v[1:2]
	v_fma_f64 v[3:4], v[159:160], v[148:149], v[3:4]
	ds_load_b128 v[157:160], v251 offset:4800
	s_wait_loadcnt_dscnt 0x0
	v_mul_f64_e32 v[5:6], v[159:160], v[154:155]
	v_mul_f64_e32 v[7:8], v[157:158], v[154:155]
	s_delay_alu instid0(VALU_DEP_2) | instskip(NEXT) | instid1(VALU_DEP_2)
	v_fma_f64 v[5:6], v[157:158], v[152:153], -v[5:6]
	v_fma_f64 v[7:8], v[159:160], v[152:153], v[7:8]
	global_load_b128 v[156:159], v13, s[2:3] offset:2240
	ds_load_b128 v[160:163], v251 offset:2880
	v_add_f64_e32 v[26:27], v[1:2], v[5:6]
	v_add_f64_e32 v[208:209], v[3:4], v[7:8]
	s_wait_loadcnt_dscnt 0x0
	v_mul_f64_e32 v[9:10], v[162:163], v[158:159]
	v_mul_f64_e32 v[11:12], v[160:161], v[158:159]
	s_delay_alu instid0(VALU_DEP_2) | instskip(NEXT) | instid1(VALU_DEP_2)
	v_fma_f64 v[9:10], v[160:161], v[156:157], -v[9:10]
	v_fma_f64 v[11:12], v[162:163], v[156:157], v[11:12]
	global_load_b128 v[160:163], v13, s[2:3] offset:2256
	s_wait_loadcnt 0x0
	v_mul_f64_e32 v[13:14], v[167:168], v[162:163]
	v_mul_f64_e32 v[15:16], v[165:166], v[162:163]
	s_delay_alu instid0(VALU_DEP_2) | instskip(NEXT) | instid1(VALU_DEP_2)
	v_fma_f64 v[13:14], v[165:166], v[160:161], -v[13:14]
	v_fma_f64 v[15:16], v[167:168], v[160:161], v[15:16]
	global_load_b128 v[164:167], v17, s[2:3] offset:2240
	ds_load_b128 v[168:171], v251 offset:3360
	s_wait_loadcnt_dscnt 0x0
	v_mul_f64_e32 v[173:174], v[170:171], v[166:167]
	s_delay_alu instid0(VALU_DEP_1)
	v_fma_f64 v[192:193], v[168:169], v[164:165], -v[173:174]
	v_mul_f64_e32 v[168:169], v[168:169], v[166:167]
	ds_load_b128 v[173:176], v251 offset:5760
	v_fma_f64 v[194:195], v[170:171], v[164:165], v[168:169]
	global_load_b128 v[168:171], v17, s[2:3] offset:2256
	v_lshlrev_b32_e32 v17, 5, v172
	s_wait_loadcnt_dscnt 0x0
	v_mul_f64_e32 v[177:178], v[175:176], v[170:171]
	s_delay_alu instid0(VALU_DEP_1) | instskip(SKIP_1) | instid1(VALU_DEP_1)
	v_fma_f64 v[196:197], v[173:174], v[168:169], -v[177:178]
	v_mul_f64_e32 v[173:174], v[173:174], v[170:171]
	v_fma_f64 v[198:199], v[175:176], v[168:169], v[173:174]
	global_load_b128 v[172:175], v17, s[2:3] offset:2240
	ds_load_b128 v[176:179], v251 offset:3840
	s_wait_loadcnt_dscnt 0x0
	v_mul_f64_e32 v[181:182], v[178:179], v[174:175]
	s_delay_alu instid0(VALU_DEP_1)
	v_fma_f64 v[200:201], v[176:177], v[172:173], -v[181:182]
	v_mul_f64_e32 v[176:177], v[176:177], v[174:175]
	ds_load_b128 v[181:184], v251 offset:6240
	v_fma_f64 v[202:203], v[178:179], v[172:173], v[176:177]
	global_load_b128 v[176:179], v17, s[2:3] offset:2256
	s_wait_loadcnt_dscnt 0x0
	v_mul_f64_e32 v[185:186], v[183:184], v[178:179]
	s_delay_alu instid0(VALU_DEP_1) | instskip(SKIP_1) | instid1(VALU_DEP_1)
	v_fma_f64 v[204:205], v[181:182], v[176:177], -v[185:186]
	v_mul_f64_e32 v[181:182], v[181:182], v[178:179]
	v_fma_f64 v[206:207], v[183:184], v[176:177], v[181:182]
	global_load_b128 v[180:183], v22, s[2:3] offset:2240
	ds_load_b128 v[184:187], v251 offset:4320
	s_wait_loadcnt_dscnt 0x0
	v_mul_f64_e32 v[188:189], v[186:187], v[182:183]
	s_delay_alu instid0(VALU_DEP_1)
	v_fma_f64 v[17:18], v[184:185], v[180:181], -v[188:189]
	v_mul_f64_e32 v[184:185], v[184:185], v[182:183]
	ds_load_b128 v[188:191], v251 offset:6720
	v_fma_f64 v[19:20], v[186:187], v[180:181], v[184:185]
	global_load_b128 v[184:187], v22, s[2:3] offset:2256
	s_wait_loadcnt_dscnt 0x0
	v_mul_f64_e32 v[22:23], v[190:191], v[186:187]
	s_delay_alu instid0(VALU_DEP_1) | instskip(SKIP_1) | instid1(VALU_DEP_1)
	v_fma_f64 v[22:23], v[188:189], v[184:185], -v[22:23]
	v_mul_f64_e32 v[188:189], v[188:189], v[186:187]
	v_fma_f64 v[24:25], v[190:191], v[184:185], v[188:189]
	ds_load_b128 v[188:191], v251
	s_wait_dscnt 0x0
	v_fma_f64 v[26:27], v[26:27], -0.5, v[188:189]
	v_fma_f64 v[218:219], v[208:209], -0.5, v[190:191]
	v_add_f64_e32 v[190:191], v[190:191], v[3:4]
	v_add_f64_e32 v[188:189], v[188:189], v[1:2]
	v_add_f64_e64 v[3:4], v[3:4], -v[7:8]
	v_add_f64_e64 v[1:2], v[1:2], -v[5:6]
	s_delay_alu instid0(VALU_DEP_4) | instskip(NEXT) | instid1(VALU_DEP_4)
	v_add_f64_e32 v[210:211], v[190:191], v[7:8]
	v_add_f64_e32 v[208:209], v[188:189], v[5:6]
	ds_load_b128 v[188:191], v251 offset:480
	v_fma_f64 v[212:213], v[3:4], s[8:9], v[26:27]
	v_fma_f64 v[216:217], v[3:4], s[14:15], v[26:27]
	;; [unrolled: 1-line block ×4, first 2 shown]
	v_add_f64_e32 v[1:2], v[9:10], v[13:14]
	v_add_f64_e32 v[3:4], v[11:12], v[15:16]
	s_wait_dscnt 0x0
	v_add_f64_e32 v[5:6], v[190:191], v[11:12]
	v_add_f64_e64 v[11:12], v[11:12], -v[15:16]
	v_add_f64_e32 v[7:8], v[188:189], v[9:10]
	v_fma_f64 v[1:2], v[1:2], -0.5, v[188:189]
	v_fma_f64 v[3:4], v[3:4], -0.5, v[190:191]
	ds_load_b128 v[188:191], v251 offset:960
	v_add_f64_e32 v[222:223], v[5:6], v[15:16]
	v_add_f64_e64 v[5:6], v[9:10], -v[13:14]
	v_add_f64_e32 v[220:221], v[7:8], v[13:14]
	v_add_f64_e64 v[9:10], v[194:195], -v[198:199]
	s_wait_dscnt 0x0
	v_add_f64_e32 v[7:8], v[188:189], v[192:193]
	v_fma_f64 v[224:225], v[11:12], s[8:9], v[1:2]
	v_fma_f64 v[228:229], v[11:12], s[14:15], v[1:2]
	v_add_f64_e32 v[1:2], v[192:193], v[196:197]
	v_fma_f64 v[226:227], v[5:6], s[14:15], v[3:4]
	v_fma_f64 v[230:231], v[5:6], s[8:9], v[3:4]
	v_add_f64_e32 v[3:4], v[194:195], v[198:199]
	v_add_f64_e32 v[5:6], v[190:191], v[194:195]
	;; [unrolled: 1-line block ×3, first 2 shown]
	v_fma_f64 v[1:2], v[1:2], -0.5, v[188:189]
	s_delay_alu instid0(VALU_DEP_4) | instskip(NEXT) | instid1(VALU_DEP_4)
	v_fma_f64 v[3:4], v[3:4], -0.5, v[190:191]
	v_add_f64_e32 v[234:235], v[5:6], v[198:199]
	v_add_f64_e64 v[5:6], v[192:193], -v[196:197]
	ds_load_b128 v[188:191], v251 offset:1440
	ds_load_b128 v[196:199], v251 offset:1920
	v_fma_f64 v[236:237], v[9:10], s[8:9], v[1:2]
	v_fma_f64 v[240:241], v[9:10], s[14:15], v[1:2]
	v_add_f64_e32 v[1:2], v[200:201], v[204:205]
	v_add_f64_e64 v[9:10], v[202:203], -v[206:207]
	s_wait_dscnt 0x1
	v_add_f64_e32 v[7:8], v[188:189], v[200:201]
	v_fma_f64 v[238:239], v[5:6], s[14:15], v[3:4]
	v_fma_f64 v[242:243], v[5:6], s[8:9], v[3:4]
	v_add_f64_e32 v[3:4], v[202:203], v[206:207]
	v_add_f64_e32 v[5:6], v[190:191], v[202:203]
	v_fma_f64 v[1:2], v[1:2], -0.5, v[188:189]
	v_add_f64_e32 v[244:245], v[7:8], v[204:205]
	s_wait_dscnt 0x0
	v_add_f64_e32 v[7:8], v[196:197], v[17:18]
	v_fma_f64 v[3:4], v[3:4], -0.5, v[190:191]
	v_add_f64_e32 v[246:247], v[5:6], v[206:207]
	v_add_f64_e64 v[5:6], v[200:201], -v[204:205]
	v_fma_f64 v[188:189], v[9:10], s[8:9], v[1:2]
	v_fma_f64 v[192:193], v[9:10], s[14:15], v[1:2]
	v_add_f64_e32 v[1:2], v[17:18], v[22:23]
	v_add_f64_e64 v[9:10], v[19:20], -v[24:25]
	v_add_f64_e32 v[200:201], v[7:8], v[22:23]
	v_fma_f64 v[190:191], v[5:6], s[14:15], v[3:4]
	v_fma_f64 v[194:195], v[5:6], s[8:9], v[3:4]
	v_add_f64_e32 v[3:4], v[19:20], v[24:25]
	v_add_f64_e32 v[5:6], v[198:199], v[19:20]
	v_fma_f64 v[1:2], v[1:2], -0.5, v[196:197]
	s_delay_alu instid0(VALU_DEP_3) | instskip(NEXT) | instid1(VALU_DEP_3)
	v_fma_f64 v[3:4], v[3:4], -0.5, v[198:199]
	v_add_f64_e32 v[202:203], v[5:6], v[24:25]
	v_add_f64_e64 v[5:6], v[17:18], -v[22:23]
	s_delay_alu instid0(VALU_DEP_4) | instskip(SKIP_1) | instid1(VALU_DEP_3)
	v_fma_f64 v[196:197], v[9:10], s[8:9], v[1:2]
	v_fma_f64 v[204:205], v[9:10], s[14:15], v[1:2]
	;; [unrolled: 1-line block ×4, first 2 shown]
	ds_store_b128 v254, v[220:223] offset:480
	ds_store_b128 v254, v[232:235] offset:960
	ds_store_b128 v251, v[208:211]
	ds_store_b128 v254, v[212:215] offset:2400
	ds_store_b128 v254, v[224:227] offset:2880
	;; [unrolled: 1-line block ×12, first 2 shown]
	global_wb scope:SCOPE_SE
	s_wait_storecnt_dscnt 0x0
	s_barrier_signal -1
	s_barrier_wait -1
	global_inv scope:SCOPE_SE
	scratch_load_b64 v[1:2], off, off       ; 8-byte Folded Reload
	ds_load_b128 v[212:215], v251
	ds_load_b128 v[218:221], v251 offset:720
	ds_load_b128 v[224:227], v251 offset:1440
	;; [unrolled: 1-line block ×5, first 2 shown]
	s_wait_loadcnt 0x0
	global_load_b128 v[208:211], v[1:2], off offset:7200
	s_wait_loadcnt_dscnt 0x5
	v_mul_f64_e32 v[1:2], v[214:215], v[210:211]
	v_mul_f64_e32 v[3:4], v[212:213], v[210:211]
	s_delay_alu instid0(VALU_DEP_2) | instskip(NEXT) | instid1(VALU_DEP_2)
	v_fma_f64 v[210:211], v[212:213], v[208:209], -v[1:2]
	v_fma_f64 v[212:213], v[214:215], v[208:209], v[3:4]
	v_lshlrev_b32_e32 v208, 4, v21
	global_load_b128 v[214:217], v208, s[0:1] offset:720
	s_wait_loadcnt_dscnt 0x4
	v_mul_f64_e32 v[1:2], v[220:221], v[216:217]
	v_mul_f64_e32 v[3:4], v[218:219], v[216:217]
	s_delay_alu instid0(VALU_DEP_2) | instskip(NEXT) | instid1(VALU_DEP_2)
	v_fma_f64 v[216:217], v[218:219], v[214:215], -v[1:2]
	v_fma_f64 v[218:219], v[220:221], v[214:215], v[3:4]
	global_load_b128 v[220:223], v208, s[0:1] offset:1440
	s_wait_loadcnt_dscnt 0x3
	v_mul_f64_e32 v[1:2], v[226:227], v[222:223]
	v_mul_f64_e32 v[3:4], v[224:225], v[222:223]
	s_delay_alu instid0(VALU_DEP_2) | instskip(NEXT) | instid1(VALU_DEP_2)
	v_fma_f64 v[222:223], v[224:225], v[220:221], -v[1:2]
	v_fma_f64 v[224:225], v[226:227], v[220:221], v[3:4]
	;; [unrolled: 7-line block ×5, first 2 shown]
	global_load_b128 v[244:247], v208, s[0:1] offset:4320
	ds_load_b128 v[1:4], v251 offset:4320
	s_wait_loadcnt_dscnt 0x0
	v_mul_f64_e32 v[5:6], v[3:4], v[246:247]
	v_mul_f64_e32 v[7:8], v[1:2], v[246:247]
	s_delay_alu instid0(VALU_DEP_2) | instskip(NEXT) | instid1(VALU_DEP_2)
	v_fma_f64 v[1:2], v[1:2], v[244:245], -v[5:6]
	v_fma_f64 v[3:4], v[3:4], v[244:245], v[7:8]
	global_load_b128 v[244:247], v208, s[0:1] offset:5040
	ds_load_b128 v[5:8], v251 offset:5040
	s_wait_loadcnt_dscnt 0x0
	v_mul_f64_e32 v[9:10], v[7:8], v[246:247]
	v_mul_f64_e32 v[11:12], v[5:6], v[246:247]
	s_delay_alu instid0(VALU_DEP_2) | instskip(NEXT) | instid1(VALU_DEP_2)
	v_fma_f64 v[5:6], v[5:6], v[244:245], -v[9:10]
	v_fma_f64 v[7:8], v[7:8], v[244:245], v[11:12]
	global_load_b128 v[244:247], v208, s[0:1] offset:5760
	ds_load_b128 v[9:12], v251 offset:5760
	s_wait_loadcnt_dscnt 0x0
	v_mul_f64_e32 v[13:14], v[11:12], v[246:247]
	v_mul_f64_e32 v[15:16], v[9:10], v[246:247]
	s_delay_alu instid0(VALU_DEP_2) | instskip(NEXT) | instid1(VALU_DEP_2)
	v_fma_f64 v[9:10], v[9:10], v[244:245], -v[13:14]
	v_fma_f64 v[11:12], v[11:12], v[244:245], v[15:16]
	global_load_b128 v[244:247], v208, s[0:1] offset:6480
	ds_load_b128 v[13:16], v251 offset:6480
	s_wait_loadcnt_dscnt 0x0
	v_mul_f64_e32 v[17:18], v[15:16], v[246:247]
	v_mul_f64_e32 v[19:20], v[13:14], v[246:247]
	s_delay_alu instid0(VALU_DEP_2) | instskip(NEXT) | instid1(VALU_DEP_2)
	v_fma_f64 v[13:14], v[13:14], v[244:245], -v[17:18]
	v_fma_f64 v[15:16], v[15:16], v[244:245], v[19:20]
	ds_store_b128 v251, v[210:213]
	ds_store_b128 v251, v[216:219] offset:720
	ds_store_b128 v251, v[222:225] offset:1440
	;; [unrolled: 1-line block ×9, first 2 shown]
	s_and_saveexec_b32 s2, vcc_lo
	s_cbranch_execz .LBB0_9
; %bb.8:
	s_wait_alu 0xfffe
	v_add_co_u32 v17, s0, s0, v208
	s_wait_alu 0xf1ff
	v_add_co_ci_u32_e64 v18, null, s1, 0, s0
	s_clause 0x5
	global_load_b128 v[1:4], v[17:18], off offset:480
	global_load_b128 v[5:8], v[17:18], off offset:1200
	;; [unrolled: 1-line block ×6, first 2 shown]
	ds_load_b128 v[212:215], v254 offset:480
	ds_load_b128 v[220:223], v254 offset:4800
	;; [unrolled: 1-line block ×5, first 2 shown]
	s_wait_loadcnt_dscnt 0x504
	v_mul_f64_e32 v[19:20], v[214:215], v[3:4]
	v_mul_f64_e32 v[3:4], v[212:213], v[3:4]
	s_delay_alu instid0(VALU_DEP_2) | instskip(NEXT) | instid1(VALU_DEP_2)
	v_fma_f64 v[212:213], v[212:213], v[1:2], -v[19:20]
	v_fma_f64 v[214:215], v[214:215], v[1:2], v[3:4]
	ds_load_b128 v[1:4], v254 offset:1200
	s_wait_loadcnt_dscnt 0x400
	v_mul_f64_e32 v[19:20], v[3:4], v[7:8]
	v_mul_f64_e32 v[7:8], v[1:2], v[7:8]
	s_delay_alu instid0(VALU_DEP_2) | instskip(NEXT) | instid1(VALU_DEP_2)
	v_fma_f64 v[1:2], v[1:2], v[5:6], -v[19:20]
	v_fma_f64 v[3:4], v[3:4], v[5:6], v[7:8]
	ds_load_b128 v[5:8], v254 offset:1920
	;; [unrolled: 7-line block ×5, first 2 shown]
	s_wait_loadcnt_dscnt 0x0
	v_mul_f64_e32 v[19:20], v[210:211], v[218:219]
	v_mul_f64_e32 v[22:23], v[208:209], v[218:219]
	s_delay_alu instid0(VALU_DEP_2) | instskip(NEXT) | instid1(VALU_DEP_2)
	v_fma_f64 v[208:209], v[208:209], v[216:217], -v[19:20]
	v_fma_f64 v[210:211], v[210:211], v[216:217], v[22:23]
	global_load_b128 v[216:219], v[17:18], off offset:4800
	s_wait_loadcnt 0x0
	v_mul_f64_e32 v[19:20], v[222:223], v[218:219]
	v_mul_f64_e32 v[22:23], v[220:221], v[218:219]
	s_delay_alu instid0(VALU_DEP_2) | instskip(NEXT) | instid1(VALU_DEP_2)
	v_fma_f64 v[218:219], v[220:221], v[216:217], -v[19:20]
	v_fma_f64 v[220:221], v[222:223], v[216:217], v[22:23]
	global_load_b128 v[222:225], v[17:18], off offset:5520
	s_wait_loadcnt 0x0
	;; [unrolled: 7-line block ×4, first 2 shown]
	v_mul_f64_e32 v[17:18], v[240:241], v[236:237]
	v_mul_f64_e32 v[19:20], v[238:239], v[236:237]
	s_delay_alu instid0(VALU_DEP_2) | instskip(NEXT) | instid1(VALU_DEP_2)
	v_fma_f64 v[236:237], v[238:239], v[234:235], -v[17:18]
	v_fma_f64 v[238:239], v[240:241], v[234:235], v[19:20]
	ds_store_b128 v254, v[212:215] offset:480
	ds_store_b128 v254, v[1:4] offset:1200
	;; [unrolled: 1-line block ×10, first 2 shown]
.LBB0_9:
	s_wait_alu 0xfffe
	s_or_b32 exec_lo, exec_lo, s2
	global_wb scope:SCOPE_SE
	s_wait_dscnt 0x0
	s_barrier_signal -1
	s_barrier_wait -1
	global_inv scope:SCOPE_SE
	ds_load_b128 v[208:211], v251
	ds_load_b128 v[212:215], v251 offset:720
	ds_load_b128 v[244:247], v251 offset:1440
	;; [unrolled: 1-line block ×9, first 2 shown]
	s_and_saveexec_b32 s0, vcc_lo
	s_cbranch_execz .LBB0_11
; %bb.10:
	ds_load_b128 v[188:191], v254 offset:480
	ds_load_b128 v[192:195], v254 offset:1200
	;; [unrolled: 1-line block ×10, first 2 shown]
.LBB0_11:
	s_wait_alu 0xfffe
	s_or_b32 exec_lo, exec_lo, s0
	s_wait_dscnt 0x7
	v_add_f64_e32 v[3:4], v[210:211], v[246:247]
	v_add_f64_e32 v[1:2], v[208:209], v[244:245]
	s_wait_dscnt 0x1
	v_add_f64_e32 v[5:6], v[244:245], v[232:233]
	v_add_f64_e32 v[7:8], v[246:247], v[234:235]
	v_add_f64_e64 v[17:18], v[246:247], -v[234:235]
	v_add_f64_e64 v[19:20], v[244:245], -v[232:233]
	;; [unrolled: 1-line block ×6, first 2 shown]
	v_add_f64_e32 v[15:16], v[242:243], v[238:239]
	v_add_f64_e64 v[26:27], v[242:243], -v[238:239]
	v_add_f64_e64 v[244:245], v[234:235], -v[238:239]
	s_wait_dscnt 0x0
	v_add_f64_e32 v[246:247], v[230:231], v[222:223]
	v_add_f64_e64 v[32:33], v[230:231], -v[222:223]
	v_add_f64_e64 v[36:37], v[230:231], -v[226:227]
	;; [unrolled: 1-line block ×5, first 2 shown]
	v_add_f64_e32 v[252:253], v[224:225], v[216:217]
	v_add_f64_e64 v[40:41], v[220:221], -v[216:217]
	s_mov_b32 s12, 0x134454ff
	s_mov_b32 s13, 0xbfee6f0e
	;; [unrolled: 1-line block ×3, first 2 shown]
	s_wait_alu 0xfffe
	s_mov_b32 s14, s12
	v_add_f64_e32 v[13:14], v[240:241], v[236:237]
	v_add_f64_e64 v[248:249], v[224:225], -v[216:217]
	v_add_f64_e64 v[42:43], v[222:223], -v[218:219]
	s_mov_b32 s2, 0x4755a5e
	s_mov_b32 s3, 0xbfe2cf23
	;; [unrolled: 1-line block ×3, first 2 shown]
	s_wait_alu 0xfffe
	s_mov_b32 s8, s2
	v_add_f64_e32 v[28:29], v[228:229], v[220:221]
	s_mov_b32 s0, 0x372fe950
	s_mov_b32 s1, 0x3fd3c6ef
	;; [unrolled: 1-line block ×5, first 2 shown]
	v_add_f64_e32 v[3:4], v[3:4], v[242:243]
	v_add_f64_e32 v[1:2], v[1:2], v[240:241]
	v_add_f64_e64 v[242:243], v[232:233], -v[236:237]
	v_add_f64_e64 v[240:241], v[240:241], -v[236:237]
	v_fma_f64 v[46:47], v[5:6], -0.5, v[208:209]
	v_fma_f64 v[50:51], v[7:8], -0.5, v[210:211]
	s_wait_alu 0xfffe
	s_mov_b32 s18, s0
	s_mov_b32 s21, 0xbfe9e377
	s_mov_b32 s20, s16
	global_wb scope:SCOPE_SE
	v_fma_f64 v[48:49], v[15:16], -0.5, v[210:211]
	s_barrier_signal -1
	s_barrier_wait -1
	v_fma_f64 v[246:247], v[246:247], -0.5, v[214:215]
	global_inv scope:SCOPE_SE
	v_fma_f64 v[252:253], v[252:253], -0.5, v[212:213]
	v_add_f64_e32 v[34:35], v[34:35], v[40:41]
	v_fma_f64 v[44:45], v[13:14], -0.5, v[208:209]
	v_add_f64_e32 v[36:37], v[36:37], v[42:43]
	v_add_f64_e32 v[42:43], v[11:12], v[244:245]
	v_fma_f64 v[28:29], v[28:29], -0.5, v[212:213]
	v_add_f64_e32 v[3:4], v[3:4], v[238:239]
	v_add_f64_e64 v[238:239], v[238:239], -v[234:235]
	v_add_f64_e32 v[1:2], v[1:2], v[236:237]
	v_add_f64_e64 v[236:237], v[236:237], -v[232:233]
	v_add_f64_e32 v[40:41], v[9:10], v[242:243]
	v_fma_f64 v[11:12], v[32:33], s[12:13], v[252:253]
	v_add_f64_e32 v[234:235], v[3:4], v[234:235]
	v_add_f64_e32 v[3:4], v[214:215], v[230:231]
	;; [unrolled: 1-line block ×5, first 2 shown]
	v_add_f64_e64 v[228:229], v[224:225], -v[228:229]
	v_add_f64_e32 v[22:23], v[22:23], v[236:237]
	v_add_f64_e32 v[24:25], v[24:25], v[238:239]
	;; [unrolled: 1-line block ×3, first 2 shown]
	v_fma_f64 v[230:231], v[230:231], -0.5, v[214:215]
	v_add_f64_e32 v[1:2], v[1:2], v[224:225]
	v_add_f64_e64 v[225:226], v[226:227], -v[218:219]
	s_delay_alu instid0(VALU_DEP_4) | instskip(NEXT) | instid1(VALU_DEP_4)
	v_add_f64_e32 v[3:4], v[3:4], v[218:219]
	v_fma_f64 v[9:10], v[30:31], s[14:15], v[230:231]
	v_add_f64_e64 v[218:219], v[218:219], -v[222:223]
	v_add_f64_e32 v[1:2], v[1:2], v[216:217]
	v_fma_f64 v[11:12], v[225:226], s[2:3], v[11:12]
	v_add_f64_e64 v[216:217], v[216:217], -v[220:221]
	v_add_f64_e32 v[222:223], v[3:4], v[222:223]
	v_fma_f64 v[9:10], v[248:249], s[8:9], v[9:10]
	v_add_f64_e32 v[38:39], v[38:39], v[218:219]
	v_add_f64_e32 v[220:221], v[1:2], v[220:221]
	v_fma_f64 v[11:12], v[34:35], s[0:1], v[11:12]
	v_add_f64_e32 v[217:218], v[228:229], v[216:217]
	v_add_f64_e32 v[3:4], v[234:235], v[222:223]
	v_fma_f64 v[9:10], v[36:37], s[0:1], v[9:10]
	v_add_f64_e64 v[7:8], v[234:235], -v[222:223]
	v_add_f64_e32 v[1:2], v[232:233], v[220:221]
	v_add_f64_e64 v[5:6], v[232:233], -v[220:221]
	ds_store_b128 v255, v[1:4]
	ds_store_b128 v255, v[5:8] offset:80
	v_mul_f64_e32 v[13:14], s[2:3], v[9:10]
	s_delay_alu instid0(VALU_DEP_1) | instskip(SKIP_1) | instid1(VALU_DEP_1)
	v_fma_f64 v[13:14], v[11:12], s[16:17], v[13:14]
	v_mul_f64_e32 v[11:12], s[8:9], v[11:12]
	v_fma_f64 v[15:16], v[9:10], s[16:17], v[11:12]
	v_fma_f64 v[9:10], v[17:18], s[12:13], v[44:45]
	;; [unrolled: 1-line block ×3, first 2 shown]
	s_delay_alu instid0(VALU_DEP_2) | instskip(NEXT) | instid1(VALU_DEP_2)
	v_fma_f64 v[9:10], v[26:27], s[2:3], v[9:10]
	v_fma_f64 v[11:12], v[240:241], s[8:9], v[11:12]
	s_delay_alu instid0(VALU_DEP_2) | instskip(NEXT) | instid1(VALU_DEP_2)
	v_fma_f64 v[208:209], v[40:41], s[0:1], v[9:10]
	v_fma_f64 v[210:211], v[42:43], s[0:1], v[11:12]
	s_delay_alu instid0(VALU_DEP_2) | instskip(SKIP_2) | instid1(VALU_DEP_4)
	v_add_f64_e32 v[9:10], v[208:209], v[13:14]
	v_add_f64_e64 v[13:14], v[208:209], -v[13:14]
	v_fma_f64 v[208:209], v[248:249], s[12:13], v[246:247]
	v_add_f64_e32 v[11:12], v[210:211], v[15:16]
	v_add_f64_e64 v[15:16], v[210:211], -v[15:16]
	v_fma_f64 v[210:211], v[225:226], s[14:15], v[28:29]
	v_fma_f64 v[28:29], v[225:226], s[12:13], v[28:29]
	;; [unrolled: 1-line block ×3, first 2 shown]
	s_delay_alu instid0(VALU_DEP_3) | instskip(NEXT) | instid1(VALU_DEP_3)
	v_fma_f64 v[210:211], v[32:33], s[2:3], v[210:211]
	v_fma_f64 v[28:29], v[32:33], s[8:9], v[28:29]
	s_delay_alu instid0(VALU_DEP_3) | instskip(NEXT) | instid1(VALU_DEP_3)
	v_fma_f64 v[208:209], v[38:39], s[0:1], v[208:209]
	v_fma_f64 v[210:211], v[217:218], s[0:1], v[210:211]
	s_delay_alu instid0(VALU_DEP_3) | instskip(NEXT) | instid1(VALU_DEP_3)
	v_fma_f64 v[28:29], v[217:218], s[0:1], v[28:29]
	v_mul_f64_e32 v[212:213], s[12:13], v[208:209]
	v_mul_f64_e32 v[208:209], s[0:1], v[208:209]
	s_delay_alu instid0(VALU_DEP_2) | instskip(NEXT) | instid1(VALU_DEP_2)
	v_fma_f64 v[213:214], v[210:211], s[0:1], v[212:213]
	v_fma_f64 v[215:216], v[210:211], s[14:15], v[208:209]
	;; [unrolled: 1-line block ×5, first 2 shown]
	s_delay_alu instid0(VALU_DEP_3) | instskip(NEXT) | instid1(VALU_DEP_3)
	v_fma_f64 v[208:209], v[17:18], s[2:3], v[208:209]
	v_fma_f64 v[210:211], v[19:20], s[8:9], v[210:211]
	s_delay_alu instid0(VALU_DEP_3) | instskip(SKIP_1) | instid1(VALU_DEP_4)
	v_fma_f64 v[46:47], v[17:18], s[8:9], v[46:47]
	v_fma_f64 v[17:18], v[17:18], s[14:15], v[44:45]
	v_fma_f64 v[219:220], v[22:23], s[0:1], v[208:209]
	s_delay_alu instid0(VALU_DEP_4) | instskip(NEXT) | instid1(VALU_DEP_4)
	v_fma_f64 v[221:222], v[24:25], s[0:1], v[210:211]
	v_fma_f64 v[22:23], v[22:23], s[0:1], v[46:47]
	;; [unrolled: 1-line block ×4, first 2 shown]
	v_add_nc_u32_e32 v208, 0x780, v251
	v_add_f64_e32 v[209:210], v[219:220], v[213:214]
	v_add_f64_e64 v[213:214], v[219:220], -v[213:214]
	v_fma_f64 v[219:220], v[248:249], s[14:15], v[246:247]
	v_fma_f64 v[46:47], v[19:20], s[2:3], v[46:47]
	v_add_f64_e32 v[211:212], v[221:222], v[215:216]
	v_add_f64_e64 v[215:216], v[221:222], -v[215:216]
	v_fma_f64 v[19:20], v[19:20], s[12:13], v[48:49]
	v_fma_f64 v[17:18], v[40:41], s[0:1], v[17:18]
	;; [unrolled: 1-line block ×4, first 2 shown]
	s_delay_alu instid0(VALU_DEP_4) | instskip(NEXT) | instid1(VALU_DEP_3)
	v_fma_f64 v[19:20], v[240:241], s[2:3], v[19:20]
	v_fma_f64 v[38:39], v[38:39], s[0:1], v[219:220]
	s_delay_alu instid0(VALU_DEP_2) | instskip(NEXT) | instid1(VALU_DEP_2)
	v_fma_f64 v[19:20], v[42:43], s[0:1], v[19:20]
	v_mul_f64_e32 v[46:47], s[12:13], v[38:39]
	s_wait_alu 0xfffe
	v_mul_f64_e32 v[38:39], s[18:19], v[38:39]
	s_delay_alu instid0(VALU_DEP_2) | instskip(NEXT) | instid1(VALU_DEP_2)
	v_fma_f64 v[46:47], v[28:29], s[18:19], v[46:47]
	v_fma_f64 v[28:29], v[28:29], s[14:15], v[38:39]
	s_delay_alu instid0(VALU_DEP_2) | instskip(SKIP_2) | instid1(VALU_DEP_4)
	v_add_f64_e32 v[217:218], v[22:23], v[46:47]
	v_add_f64_e64 v[221:222], v[22:23], -v[46:47]
	v_fma_f64 v[22:23], v[30:31], s[12:13], v[230:231]
	v_add_f64_e32 v[219:220], v[24:25], v[28:29]
	v_add_f64_e64 v[223:224], v[24:25], -v[28:29]
	v_fma_f64 v[24:25], v[32:33], s[14:15], v[252:253]
	s_delay_alu instid0(VALU_DEP_4) | instskip(NEXT) | instid1(VALU_DEP_2)
	v_fma_f64 v[22:23], v[248:249], s[2:3], v[22:23]
	v_fma_f64 v[24:25], v[225:226], s[8:9], v[24:25]
	s_delay_alu instid0(VALU_DEP_2) | instskip(NEXT) | instid1(VALU_DEP_2)
	v_fma_f64 v[22:23], v[36:37], s[0:1], v[22:23]
	v_fma_f64 v[24:25], v[34:35], s[0:1], v[24:25]
	s_delay_alu instid0(VALU_DEP_2) | instskip(SKIP_1) | instid1(VALU_DEP_2)
	v_mul_f64_e32 v[26:27], s[2:3], v[22:23]
	v_mul_f64_e32 v[22:23], s[20:21], v[22:23]
	v_fma_f64 v[26:27], v[24:25], s[20:21], v[26:27]
	s_delay_alu instid0(VALU_DEP_2) | instskip(NEXT) | instid1(VALU_DEP_2)
	v_fma_f64 v[22:23], v[24:25], s[8:9], v[22:23]
	v_add_f64_e32 v[225:226], v[17:18], v[26:27]
	s_delay_alu instid0(VALU_DEP_2)
	v_add_f64_e32 v[227:228], v[19:20], v[22:23]
	v_add_f64_e64 v[229:230], v[17:18], -v[26:27]
	v_add_f64_e64 v[231:232], v[19:20], -v[22:23]
	ds_store_b128 v255, v[9:12] offset:16
	ds_store_b128 v255, v[209:212] offset:32
	;; [unrolled: 1-line block ×8, first 2 shown]
	s_and_saveexec_b32 s22, vcc_lo
	s_cbranch_execz .LBB0_13
; %bb.12:
	v_add_f64_e32 v[3:4], v[188:189], v[200:201]
	v_add_f64_e32 v[1:2], v[190:191], v[202:203]
	;; [unrolled: 1-line block ×3, first 2 shown]
	v_add_f64_e64 v[17:18], v[200:201], -v[68:69]
	v_add_f64_e32 v[13:14], v[206:207], v[66:67]
	v_add_f64_e64 v[28:29], v[206:207], -v[66:67]
	v_add_f64_e64 v[30:31], v[70:71], -v[66:67]
	;; [unrolled: 1-line block ×6, first 2 shown]
	v_add_f64_e32 v[46:47], v[196:197], v[60:61]
	v_add_f64_e32 v[5:6], v[202:203], v[70:71]
	v_add_f64_e64 v[19:20], v[202:203], -v[70:71]
	v_add_f64_e64 v[9:10], v[202:203], -v[206:207]
	;; [unrolled: 1-line block ×5, first 2 shown]
	v_add_f64_e32 v[15:16], v[204:205], v[64:65]
	v_add_f64_e64 v[26:27], v[204:205], -v[64:65]
	v_add_f64_e32 v[42:43], v[198:199], v[62:63]
	v_add_f64_e64 v[50:51], v[198:199], -v[54:55]
	v_add_f64_e64 v[200:201], v[54:55], -v[58:59]
	;; [unrolled: 1-line block ×3, first 2 shown]
	v_add_f64_e32 v[3:4], v[3:4], v[204:205]
	v_add_f64_e32 v[1:2], v[1:2], v[206:207]
	v_fma_f64 v[46:47], v[46:47], -0.5, v[192:193]
	v_add_f64_e32 v[30:31], v[9:10], v[30:31]
	v_add_f64_e32 v[34:35], v[11:12], v[34:35]
	v_add_f64_e32 v[24:25], v[24:25], v[36:37]
	v_fma_f64 v[42:43], v[42:43], -0.5, v[194:195]
	v_add_f64_e32 v[22:23], v[22:23], v[32:33]
	v_add_f64_e32 v[3:4], v[3:4], v[64:65]
	;; [unrolled: 1-line block ×3, first 2 shown]
	v_add_f64_e64 v[66:67], v[196:197], -v[52:53]
	v_add_f64_e64 v[64:65], v[54:55], -v[198:199]
	v_fma_f64 v[36:37], v[200:201], s[14:15], v[46:47]
	v_add_f64_e32 v[40:41], v[3:4], v[68:69]
	v_add_f64_e32 v[3:4], v[192:193], v[196:197]
	;; [unrolled: 1-line block ×4, first 2 shown]
	v_add_f64_e64 v[68:69], v[52:53], -v[196:197]
	v_add_f64_e32 v[196:197], v[52:53], v[56:57]
	v_add_f64_e32 v[70:71], v[54:55], v[58:59]
	v_add_f64_e64 v[198:199], v[52:53], -v[56:57]
	v_fma_f64 v[36:37], v[48:49], s[2:3], v[36:37]
	v_add_f64_e32 v[3:4], v[3:4], v[52:53]
	v_add_f64_e64 v[52:53], v[62:63], -v[58:59]
	v_add_f64_e32 v[1:2], v[1:2], v[54:55]
	v_add_f64_e64 v[54:55], v[58:59], -v[62:63]
	v_fma_f64 v[196:197], v[196:197], -0.5, v[192:193]
	v_fma_f64 v[70:71], v[70:71], -0.5, v[194:195]
	;; [unrolled: 1-line block ×6, first 2 shown]
	v_fma_f64 v[32:33], v[198:199], s[12:13], v[42:43]
	v_add_f64_e32 v[3:4], v[3:4], v[56:57]
	v_add_f64_e32 v[1:2], v[1:2], v[58:59]
	v_add_f64_e64 v[58:59], v[60:61], -v[56:57]
	v_add_f64_e64 v[56:57], v[56:57], -v[60:61]
	v_fma_f64 v[9:10], v[48:49], s[12:13], v[196:197]
	v_fma_f64 v[11:12], v[44:45], s[14:15], v[70:71]
	;; [unrolled: 1-line block ×3, first 2 shown]
	v_add_f64_e32 v[60:61], v[3:4], v[60:61]
	v_add_f64_e32 v[62:63], v[1:2], v[62:63]
	v_fma_f64 v[9:10], v[200:201], s[2:3], v[9:10]
	v_fma_f64 v[11:12], v[198:199], s[8:9], v[11:12]
	s_delay_alu instid0(VALU_DEP_4)
	v_add_f64_e64 v[1:2], v[40:41], -v[60:61]
	v_add_f64_e32 v[5:6], v[40:41], v[60:61]
	v_add_f64_e32 v[40:41], v[66:67], v[58:59]
	v_add_f64_e64 v[3:4], v[38:39], -v[62:63]
	v_add_f64_e32 v[7:8], v[38:39], v[62:63]
	v_add_f64_e32 v[38:39], v[50:51], v[52:53]
	;; [unrolled: 1-line block ×3, first 2 shown]
	v_fma_f64 v[9:10], v[40:41], s[0:1], v[9:10]
	s_delay_alu instid0(VALU_DEP_3) | instskip(NEXT) | instid1(VALU_DEP_3)
	v_fma_f64 v[11:12], v[38:39], s[0:1], v[11:12]
	v_fma_f64 v[36:37], v[60:61], s[0:1], v[36:37]
	s_delay_alu instid0(VALU_DEP_3) | instskip(NEXT) | instid1(VALU_DEP_1)
	v_mul_f64_e32 v[13:14], s[8:9], v[9:10]
	v_fma_f64 v[13:14], v[11:12], s[16:17], v[13:14]
	v_mul_f64_e32 v[11:12], s[2:3], v[11:12]
	s_delay_alu instid0(VALU_DEP_1) | instskip(SKIP_2) | instid1(VALU_DEP_2)
	v_fma_f64 v[50:51], v[9:10], s[16:17], v[11:12]
	v_fma_f64 v[9:10], v[17:18], s[14:15], v[192:193]
	;; [unrolled: 1-line block ×4, first 2 shown]
	s_delay_alu instid0(VALU_DEP_2) | instskip(NEXT) | instid1(VALU_DEP_2)
	v_fma_f64 v[11:12], v[28:29], s[2:3], v[11:12]
	v_fma_f64 v[15:16], v[30:31], s[0:1], v[9:10]
	s_delay_alu instid0(VALU_DEP_2) | instskip(NEXT) | instid1(VALU_DEP_2)
	v_fma_f64 v[52:53], v[34:35], s[0:1], v[11:12]
	v_add_f64_e32 v[11:12], v[15:16], v[13:14]
	s_delay_alu instid0(VALU_DEP_2) | instskip(SKIP_4) | instid1(VALU_DEP_2)
	v_add_f64_e32 v[9:10], v[52:53], v[50:51]
	v_add_f64_e64 v[15:16], v[15:16], -v[13:14]
	v_add_f64_e64 v[13:14], v[52:53], -v[50:51]
	v_add_f64_e32 v[50:51], v[64:65], v[54:55]
	v_fma_f64 v[54:55], v[28:29], s[14:15], v[188:189]
	v_fma_f64 v[32:33], v[50:51], s[0:1], v[32:33]
	s_delay_alu instid0(VALU_DEP_2) | instskip(NEXT) | instid1(VALU_DEP_2)
	v_fma_f64 v[54:55], v[19:20], s[2:3], v[54:55]
	v_mul_f64_e32 v[52:53], s[0:1], v[32:33]
	v_mul_f64_e32 v[32:33], s[12:13], v[32:33]
	s_delay_alu instid0(VALU_DEP_3) | instskip(NEXT) | instid1(VALU_DEP_3)
	v_fma_f64 v[62:63], v[24:25], s[0:1], v[54:55]
	v_fma_f64 v[52:53], v[36:37], s[14:15], v[52:53]
	s_delay_alu instid0(VALU_DEP_3) | instskip(SKIP_1) | instid1(VALU_DEP_2)
	v_fma_f64 v[32:33], v[36:37], s[0:1], v[32:33]
	v_fma_f64 v[36:37], v[26:27], s[12:13], v[190:191]
	v_add_f64_e32 v[56:57], v[62:63], v[32:33]
	s_delay_alu instid0(VALU_DEP_2) | instskip(NEXT) | instid1(VALU_DEP_1)
	v_fma_f64 v[36:37], v[17:18], s[8:9], v[36:37]
	v_fma_f64 v[36:37], v[22:23], s[0:1], v[36:37]
	s_delay_alu instid0(VALU_DEP_1)
	v_add_f64_e64 v[54:55], v[36:37], -v[52:53]
	v_add_f64_e32 v[58:59], v[36:37], v[52:53]
	v_add_f64_e64 v[52:53], v[62:63], -v[32:33]
	v_fma_f64 v[32:33], v[198:199], s[14:15], v[42:43]
	v_fma_f64 v[42:43], v[26:27], s[14:15], v[190:191]
	v_fma_f64 v[36:37], v[200:201], s[12:13], v[46:47]
	s_delay_alu instid0(VALU_DEP_3) | instskip(NEXT) | instid1(VALU_DEP_3)
	v_fma_f64 v[32:33], v[44:45], s[2:3], v[32:33]
	v_fma_f64 v[42:43], v[17:18], s[2:3], v[42:43]
	s_delay_alu instid0(VALU_DEP_3) | instskip(SKIP_1) | instid1(VALU_DEP_4)
	v_fma_f64 v[36:37], v[48:49], s[8:9], v[36:37]
	v_fma_f64 v[17:18], v[17:18], s[12:13], v[192:193]
	;; [unrolled: 1-line block ×3, first 2 shown]
	s_delay_alu instid0(VALU_DEP_4) | instskip(SKIP_3) | instid1(VALU_DEP_3)
	v_fma_f64 v[22:23], v[22:23], s[0:1], v[42:43]
	v_fma_f64 v[42:43], v[28:29], s[12:13], v[188:189]
	;; [unrolled: 1-line block ×6, first 2 shown]
	s_delay_alu instid0(VALU_DEP_3) | instskip(NEXT) | instid1(VALU_DEP_3)
	v_fma_f64 v[17:18], v[30:31], s[0:1], v[17:18]
	v_fma_f64 v[24:25], v[24:25], s[0:1], v[42:43]
	v_mul_f64_e32 v[42:43], s[18:19], v[32:33]
	v_mul_f64_e32 v[32:33], s[12:13], v[32:33]
	v_fma_f64 v[19:20], v[28:29], s[8:9], v[19:20]
	s_delay_alu instid0(VALU_DEP_3) | instskip(NEXT) | instid1(VALU_DEP_3)
	v_fma_f64 v[42:43], v[36:37], s[14:15], v[42:43]
	v_fma_f64 v[32:33], v[36:37], s[18:19], v[32:33]
	s_delay_alu instid0(VALU_DEP_3) | instskip(NEXT) | instid1(VALU_DEP_3)
	v_fma_f64 v[19:20], v[34:35], s[0:1], v[19:20]
	v_add_f64_e64 v[62:63], v[22:23], -v[42:43]
	v_add_f64_e32 v[66:67], v[22:23], v[42:43]
	v_fma_f64 v[22:23], v[44:45], s[12:13], v[70:71]
	v_add_f64_e32 v[64:65], v[24:25], v[32:33]
	v_add_f64_e64 v[60:61], v[24:25], -v[32:33]
	v_fma_f64 v[24:25], v[48:49], s[14:15], v[196:197]
	s_delay_alu instid0(VALU_DEP_4) | instskip(NEXT) | instid1(VALU_DEP_2)
	v_fma_f64 v[22:23], v[198:199], s[2:3], v[22:23]
	v_fma_f64 v[24:25], v[200:201], s[8:9], v[24:25]
	s_delay_alu instid0(VALU_DEP_2) | instskip(NEXT) | instid1(VALU_DEP_2)
	v_fma_f64 v[22:23], v[38:39], s[0:1], v[22:23]
	v_fma_f64 v[24:25], v[40:41], s[0:1], v[24:25]
	s_delay_alu instid0(VALU_DEP_2) | instskip(SKIP_1) | instid1(VALU_DEP_2)
	v_mul_f64_e32 v[26:27], s[20:21], v[22:23]
	v_mul_f64_e32 v[22:23], s[2:3], v[22:23]
	v_fma_f64 v[26:27], v[24:25], s[8:9], v[26:27]
	s_delay_alu instid0(VALU_DEP_2) | instskip(NEXT) | instid1(VALU_DEP_2)
	v_fma_f64 v[22:23], v[24:25], s[20:21], v[22:23]
	v_add_f64_e32 v[70:71], v[17:18], v[26:27]
	v_add_f64_e64 v[190:191], v[17:18], -v[26:27]
	s_clause 0x1
	scratch_load_b32 v17, off, off offset:240 th:TH_LOAD_LU
	scratch_load_b32 v18, off, off offset:244 th:TH_LOAD_LU
	v_add_f64_e32 v[68:69], v[19:20], v[22:23]
	v_add_f64_e64 v[188:189], v[19:20], -v[22:23]
	s_wait_loadcnt 0x0
	v_lshl_add_u32 v17, v18, 4, v17
	ds_store_b128 v17, v[5:8]
	ds_store_b128 v17, v[1:4] offset:80
	ds_store_b128 v17, v[9:12] offset:16
	;; [unrolled: 1-line block ×9, first 2 shown]
.LBB0_13:
	s_or_b32 exec_lo, exec_lo, s22
	global_wb scope:SCOPE_SE
	s_wait_dscnt 0x0
	s_barrier_signal -1
	s_barrier_wait -1
	global_inv scope:SCOPE_SE
	ds_load_b128 v[1:4], v251 offset:1440
	ds_load_b128 v[5:8], v251 offset:2880
	;; [unrolled: 1-line block ×13, first 2 shown]
	scratch_load_b128 v[204:207], off, off offset:208 th:TH_LOAD_LU ; 16-byte Folded Reload
	s_wait_dscnt 0xc
	v_mul_f64_e32 v[17:18], v[98:99], v[3:4]
	v_mul_f64_e32 v[19:20], v[98:99], v[1:2]
	s_wait_dscnt 0xb
	v_mul_f64_e32 v[22:23], v[94:95], v[7:8]
	v_mul_f64_e32 v[24:25], v[94:95], v[5:6]
	;; [unrolled: 3-line block ×5, first 2 shown]
	s_wait_dscnt 0x1
	v_mul_f64_e32 v[46:47], v[102:103], v[198:199]
	s_wait_dscnt 0x0
	v_mul_f64_e32 v[48:49], v[106:107], v[202:203]
	v_fma_f64 v[17:18], v[96:97], v[1:2], v[17:18]
	v_fma_f64 v[19:20], v[96:97], v[3:4], -v[19:20]
	scratch_load_b128 v[94:97], off, off offset:176 th:TH_LOAD_LU ; 16-byte Folded Reload
	v_fma_f64 v[22:23], v[92:93], v[5:6], v[22:23]
	v_fma_f64 v[24:25], v[92:93], v[7:8], -v[24:25]
	v_mul_f64_e32 v[5:6], v[74:75], v[70:71]
	v_mul_f64_e32 v[7:8], v[74:75], v[68:69]
	v_fma_f64 v[9:10], v[84:85], v[9:10], v[26:27]
	v_fma_f64 v[11:12], v[84:85], v[11:12], -v[28:29]
	v_mul_f64_e32 v[26:27], v[90:91], v[62:63]
	v_mul_f64_e32 v[28:29], v[90:91], v[60:61]
	;; [unrolled: 4-line block ×3, first 2 shown]
	v_fma_f64 v[42:43], v[80:81], v[192:193], v[42:43]
	v_fma_f64 v[44:45], v[80:81], v[194:195], -v[44:45]
	v_fma_f64 v[46:47], v[100:101], v[196:197], v[46:47]
	v_fma_f64 v[48:49], v[104:105], v[200:201], v[48:49]
	v_add_f64_e64 v[86:87], v[17:18], -v[22:23]
	v_add_f64_e64 v[90:91], v[22:23], -v[17:18]
	v_fma_f64 v[26:27], v[88:89], v[60:61], v[26:27]
	v_fma_f64 v[28:29], v[88:89], v[62:63], -v[28:29]
	v_add_f64_e32 v[60:61], v[22:23], v[9:10]
	v_add_f64_e32 v[62:63], v[17:18], v[13:14]
	v_fma_f64 v[30:31], v[100:101], v[198:199], -v[30:31]
	v_fma_f64 v[32:33], v[104:105], v[202:203], -v[32:33]
	v_add_f64_e64 v[88:89], v[13:14], -v[9:10]
	v_add_f64_e64 v[92:93], v[9:10], -v[13:14]
	;; [unrolled: 1-line block ×3, first 2 shown]
	v_add_f64_e32 v[80:81], v[42:43], v[48:49]
	v_add_f64_e32 v[78:79], v[26:27], v[46:47]
	;; [unrolled: 1-line block ×5, first 2 shown]
	v_add_f64_e64 v[88:89], v[26:27], -v[42:43]
	v_add_f64_e32 v[90:91], v[90:91], v[92:93]
	v_add_f64_e64 v[92:93], v[46:47], -v[48:49]
	v_fma_f64 v[78:79], v[78:79], -0.5, v[52:53]
	s_wait_loadcnt 0x1
	v_mul_f64_e32 v[34:35], v[206:207], v[66:67]
	v_mul_f64_e32 v[36:37], v[206:207], v[64:65]
	s_delay_alu instid0(VALU_DEP_2) | instskip(NEXT) | instid1(VALU_DEP_2)
	v_fma_f64 v[34:35], v[204:205], v[64:65], v[34:35]
	v_fma_f64 v[36:37], v[204:205], v[66:67], -v[36:37]
	v_fma_f64 v[64:65], v[72:73], v[70:71], -v[7:8]
	v_add_f64_e32 v[66:67], v[24:25], v[11:12]
	s_wait_loadcnt 0x0
	v_mul_f64_e32 v[1:2], v[96:97], v[58:59]
	v_mul_f64_e32 v[3:4], v[96:97], v[56:57]
	scratch_load_b128 v[96:99], off, off offset:192 th:TH_LOAD_LU ; 16-byte Folded Reload
	v_add_f64_e32 v[76:77], v[36:37], v[64:65]
	v_fma_f64 v[50:51], v[94:95], v[56:57], v[1:2]
	v_fma_f64 v[56:57], v[94:95], v[58:59], -v[3:4]
	v_fma_f64 v[58:59], v[72:73], v[68:69], v[5:6]
	ds_load_b128 v[1:4], v251
	ds_load_b128 v[5:8], v251 offset:480
	v_add_f64_e32 v[68:69], v[19:20], v[15:16]
	v_add_f64_e64 v[94:95], v[19:20], -v[24:25]
	global_wb scope:SCOPE_SE
	s_wait_loadcnt_dscnt 0x0
	s_barrier_signal -1
	s_barrier_wait -1
	global_inv scope:SCOPE_SE
	v_add_f64_e32 v[192:193], v[3:4], v[19:20]
	v_add_f64_e32 v[194:195], v[5:6], v[34:35]
	;; [unrolled: 1-line block ×3, first 2 shown]
	v_fma_f64 v[60:61], v[60:61], -0.5, v[1:2]
	v_add_f64_e64 v[102:103], v[34:35], -v[50:51]
	v_add_f64_e64 v[106:107], v[50:51], -v[34:35]
	v_add_f64_e32 v[72:73], v[34:35], v[58:59]
	v_add_f64_e64 v[198:199], v[36:37], -v[56:57]
	v_add_f64_e64 v[34:35], v[34:35], -v[58:59]
	v_add_f64_e32 v[192:193], v[192:193], v[24:25]
	v_add_f64_e32 v[194:195], v[194:195], v[50:51]
	;; [unrolled: 1-line block ×3, first 2 shown]
	v_mul_f64_e32 v[38:39], v[98:99], v[190:191]
	v_mul_f64_e32 v[40:41], v[98:99], v[188:189]
	v_add_f64_e64 v[98:99], v[24:25], -v[19:20]
	v_add_f64_e64 v[19:20], v[19:20], -v[15:16]
	;; [unrolled: 1-line block ×3, first 2 shown]
	v_fma_f64 v[38:39], v[96:97], v[188:189], v[38:39]
	v_fma_f64 v[40:41], v[96:97], v[190:191], -v[40:41]
	v_add_f64_e64 v[96:97], v[15:16], -v[11:12]
	v_add_f64_e32 v[190:191], v[1:2], v[17:18]
	v_fma_f64 v[1:2], v[62:63], -0.5, v[1:2]
	v_fma_f64 v[62:63], v[66:67], -0.5, v[3:4]
	v_fma_f64 v[3:4], v[68:69], -0.5, v[3:4]
	v_add_f64_e64 v[66:67], v[56:57], -v[36:37]
	v_add_f64_e32 v[98:99], v[98:99], v[100:101]
	v_add_f64_e64 v[100:101], v[32:33], -v[30:31]
	v_add_f64_e64 v[17:18], v[17:18], -v[13:14]
	;; [unrolled: 1-line block ×3, first 2 shown]
	v_add_f64_e32 v[11:12], v[192:193], v[11:12]
	v_add_f64_e32 v[70:71], v[50:51], v[38:39]
	;; [unrolled: 1-line block ×3, first 2 shown]
	v_add_f64_e64 v[104:105], v[58:59], -v[38:39]
	v_add_f64_e64 v[188:189], v[38:39], -v[58:59]
	;; [unrolled: 1-line block ×3, first 2 shown]
	v_add_f64_e32 v[94:95], v[94:95], v[96:97]
	v_add_f64_e64 v[96:97], v[44:45], -v[28:29]
	v_add_f64_e32 v[190:191], v[190:191], v[22:23]
	v_add_f64_e64 v[22:23], v[22:23], -v[9:10]
	v_add_f64_e64 v[56:57], v[56:57], -v[40:41]
	;; [unrolled: 1-line block ×4, first 2 shown]
	v_add_f64_e32 v[38:39], v[194:195], v[38:39]
	v_add_f64_e32 v[40:41], v[196:197], v[40:41]
	v_fma_f64 v[70:71], v[70:71], -0.5, v[5:6]
	v_fma_f64 v[5:6], v[72:73], -0.5, v[5:6]
	;; [unrolled: 1-line block ×4, first 2 shown]
	v_add_f64_e32 v[74:75], v[52:53], v[42:43]
	v_add_f64_e32 v[76:77], v[54:55], v[44:45]
	v_fma_f64 v[52:53], v[80:81], -0.5, v[52:53]
	v_fma_f64 v[80:81], v[82:83], -0.5, v[54:55]
	;; [unrolled: 1-line block ×3, first 2 shown]
	v_add_f64_e64 v[82:83], v[42:43], -v[26:27]
	v_add_f64_e64 v[84:85], v[48:49], -v[46:47]
	v_add_f64_e32 v[102:103], v[102:103], v[104:105]
	v_add_f64_e64 v[104:105], v[28:29], -v[44:45]
	v_add_f64_e32 v[106:107], v[106:107], v[188:189]
	;; [unrolled: 2-line block ×3, first 2 shown]
	v_fma_f64 v[68:69], v[19:20], s[12:13], v[60:61]
	v_fma_f64 v[60:61], v[19:20], s[14:15], v[60:61]
	v_add_f64_e64 v[44:45], v[44:45], -v[32:33]
	v_add_f64_e32 v[9:10], v[190:191], v[9:10]
	v_add_f64_e64 v[42:43], v[42:43], -v[48:49]
	v_add_f64_e32 v[198:199], v[198:199], v[200:201]
	v_fma_f64 v[190:191], v[56:57], s[14:15], v[5:6]
	v_fma_f64 v[192:193], v[34:35], s[14:15], v[72:73]
	;; [unrolled: 1-line block ×3, first 2 shown]
	v_add_f64_e32 v[74:75], v[74:75], v[26:27]
	v_add_f64_e32 v[76:77], v[76:77], v[28:29]
	v_add_f64_e64 v[28:29], v[28:29], -v[30:31]
	v_add_f64_e64 v[26:27], v[26:27], -v[46:47]
	v_fma_f64 v[5:6], v[56:57], s[12:13], v[5:6]
	v_fma_f64 v[7:8], v[50:51], s[14:15], v[7:8]
	v_add_f64_e32 v[82:83], v[82:83], v[84:85]
	v_add_f64_e32 v[84:85], v[88:89], v[92:93]
	;; [unrolled: 1-line block ×3, first 2 shown]
	v_fma_f64 v[96:97], v[24:25], s[14:15], v[1:2]
	v_fma_f64 v[100:101], v[17:18], s[14:15], v[62:63]
	v_add_f64_e32 v[92:93], v[104:105], v[188:189]
	v_fma_f64 v[62:63], v[17:18], s[12:13], v[62:63]
	v_fma_f64 v[104:105], v[22:23], s[12:13], v[3:4]
	;; [unrolled: 1-line block ×9, first 2 shown]
	v_add_f64_e32 v[46:47], v[74:75], v[46:47]
	v_fma_f64 v[74:75], v[44:45], s[12:13], v[78:79]
	v_fma_f64 v[78:79], v[44:45], s[14:15], v[78:79]
	;; [unrolled: 1-line block ×6, first 2 shown]
	v_add_f64_e32 v[30:31], v[76:77], v[30:31]
	v_fma_f64 v[76:77], v[42:43], s[14:15], v[80:81]
	v_fma_f64 v[60:61], v[19:20], s[2:3], v[96:97]
	;; [unrolled: 1-line block ×16, first 2 shown]
	v_add_f64_e32 v[1:2], v[9:10], v[13:14]
	v_add_f64_e32 v[3:4], v[11:12], v[15:16]
	v_fma_f64 v[13:14], v[86:87], s[0:1], v[68:69]
	v_add_f64_e32 v[7:8], v[40:41], v[64:65]
	v_fma_f64 v[40:41], v[86:87], s[0:1], v[24:25]
	v_add_f64_e32 v[5:6], v[38:39], v[58:59]
	v_add_f64_e32 v[9:10], v[46:47], v[48:49]
	v_fma_f64 v[74:75], v[28:29], s[2:3], v[74:75]
	v_fma_f64 v[28:29], v[28:29], s[8:9], v[78:79]
	;; [unrolled: 1-line block ×6, first 2 shown]
	v_add_f64_e32 v[11:12], v[30:31], v[32:33]
	v_fma_f64 v[192:193], v[26:27], s[8:9], v[76:77]
	v_fma_f64 v[44:45], v[90:91], s[0:1], v[60:61]
	;; [unrolled: 1-line block ×16, first 2 shown]
	s_mov_b32 s3, 0x3febb67a
	ds_store_b128 v0, v[1:4]
	ds_store_b128 v0, v[13:16] offset:160
	ds_store_b128 v0, v[44:47] offset:320
	;; [unrolled: 1-line block ×4, first 2 shown]
	ds_store_b128 v250, v[5:8]
	ds_store_b128 v250, v[52:55] offset:160
	ds_store_b128 v250, v[60:63] offset:320
	;; [unrolled: 1-line block ×4, first 2 shown]
	scratch_load_b32 v0, off, off offset:224 th:TH_LOAD_LU ; 4-byte Folded Reload
	v_fma_f64 v[68:69], v[82:83], s[0:1], v[74:75]
	v_fma_f64 v[70:71], v[88:89], s[0:1], v[192:193]
	;; [unrolled: 1-line block ×8, first 2 shown]
	s_mov_b32 s0, 0xe8584caa
	s_mov_b32 s1, 0xbfebb67a
	s_wait_alu 0xfffe
	s_mov_b32 s2, s0
	s_wait_loadcnt 0x0
	ds_store_b128 v0, v[9:12]
	ds_store_b128 v0, v[68:71] offset:160
	ds_store_b128 v0, v[76:79] offset:320
	;; [unrolled: 1-line block ×4, first 2 shown]
	global_wb scope:SCOPE_SE
	s_wait_dscnt 0x0
	s_barrier_signal -1
	s_barrier_wait -1
	global_inv scope:SCOPE_SE
	ds_load_b128 v[0:3], v251 offset:2400
	ds_load_b128 v[4:7], v251 offset:4800
	;; [unrolled: 1-line block ×11, first 2 shown]
	s_wait_dscnt 0xa
	v_mul_f64_e32 v[16:17], v[110:111], v[2:3]
	v_mul_f64_e32 v[18:19], v[110:111], v[0:1]
	s_wait_dscnt 0x9
	v_mul_f64_e32 v[22:23], v[114:115], v[6:7]
	v_mul_f64_e32 v[24:25], v[114:115], v[4:5]
	s_wait_dscnt 0x6
	v_mul_f64_e32 v[36:37], v[126:127], v[40:41]
	s_wait_dscnt 0x5
	;; [unrolled: 2-line block ×4, first 2 shown]
	v_mul_f64_e32 v[72:73], v[138:139], v[54:55]
	v_mul_f64_e32 v[76:77], v[138:139], v[52:53]
	s_wait_dscnt 0x1
	v_mul_f64_e32 v[80:81], v[146:147], v[62:63]
	v_mul_f64_e32 v[82:83], v[142:143], v[56:57]
	;; [unrolled: 1-line block ×11, first 2 shown]
	v_fma_f64 v[16:17], v[108:109], v[0:1], v[16:17]
	v_fma_f64 v[18:19], v[108:109], v[2:3], -v[18:19]
	v_fma_f64 v[22:23], v[112:113], v[4:5], v[22:23]
	v_fma_f64 v[24:25], v[112:113], v[6:7], -v[24:25]
	v_fma_f64 v[36:37], v[124:125], v[42:43], -v[36:37]
	v_fma_f64 v[38:39], v[128:129], v[44:45], v[38:39]
	v_fma_f64 v[42:43], v[132:133], v[48:49], v[70:71]
	;; [unrolled: 1-line block ×3, first 2 shown]
	v_fma_f64 v[48:49], v[136:137], v[54:55], -v[76:77]
	v_fma_f64 v[52:53], v[144:145], v[60:61], v[80:81]
	v_fma_f64 v[54:55], v[140:141], v[58:59], -v[82:83]
	v_fma_f64 v[34:35], v[124:125], v[40:41], v[34:35]
	v_fma_f64 v[40:41], v[128:129], v[46:47], -v[68:69]
	v_fma_f64 v[46:47], v[132:133], v[50:51], -v[74:75]
	ds_load_b128 v[0:3], v251
	ds_load_b128 v[4:7], v251 offset:480
	v_fma_f64 v[26:27], v[116:117], v[8:9], v[26:27]
	v_fma_f64 v[28:29], v[116:117], v[10:11], -v[28:29]
	v_fma_f64 v[30:31], v[120:121], v[12:13], v[30:31]
	v_fma_f64 v[32:33], v[120:121], v[14:15], -v[32:33]
	ds_load_b128 v[8:11], v251 offset:960
	ds_load_b128 v[12:15], v251 offset:1440
	v_fma_f64 v[50:51], v[140:141], v[56:57], v[78:79]
	v_fma_f64 v[56:57], v[144:145], v[62:63], -v[84:85]
	global_wb scope:SCOPE_SE
	s_wait_dscnt 0x0
	s_barrier_signal -1
	s_barrier_wait -1
	global_inv scope:SCOPE_SE
	v_add_f64_e32 v[82:83], v[0:1], v[16:17]
	v_add_f64_e32 v[58:59], v[16:17], v[22:23]
	;; [unrolled: 1-line block ×3, first 2 shown]
	v_add_f64_e64 v[84:85], v[18:19], -v[24:25]
	v_add_f64_e32 v[18:19], v[2:3], v[18:19]
	v_add_f64_e32 v[94:95], v[12:13], v[42:43]
	;; [unrolled: 1-line block ×3, first 2 shown]
	v_add_f64_e64 v[16:17], v[16:17], -v[22:23]
	v_add_f64_e64 v[104:105], v[42:43], -v[44:45]
	v_add_f64_e32 v[92:93], v[10:11], v[36:37]
	v_add_f64_e32 v[70:71], v[34:35], v[38:39]
	;; [unrolled: 1-line block ×5, first 2 shown]
	v_add_f64_e64 v[102:103], v[46:47], -v[48:49]
	v_add_f64_e32 v[86:87], v[4:5], v[26:27]
	v_add_f64_e32 v[88:89], v[6:7], v[28:29]
	;; [unrolled: 1-line block ×4, first 2 shown]
	v_add_f64_e64 v[28:29], v[28:29], -v[32:33]
	v_add_f64_e32 v[78:79], v[50:51], v[52:53]
	v_add_f64_e32 v[98:99], v[64:65], v[50:51]
	v_add_f64_e64 v[108:109], v[50:51], -v[52:53]
	v_add_f64_e64 v[26:27], v[26:27], -v[30:31]
	v_add_f64_e32 v[100:101], v[66:67], v[54:55]
	v_add_f64_e32 v[90:91], v[8:9], v[34:35]
	v_add_f64_e64 v[36:37], v[36:37], -v[40:41]
	v_add_f64_e64 v[34:35], v[34:35], -v[38:39]
	v_add_f64_e32 v[80:81], v[54:55], v[56:57]
	v_add_f64_e64 v[106:107], v[54:55], -v[56:57]
	v_fma_f64 v[58:59], v[58:59], -0.5, v[0:1]
	v_fma_f64 v[60:61], v[60:61], -0.5, v[2:3]
	v_add_f64_e32 v[0:1], v[82:83], v[22:23]
	v_add_f64_e32 v[2:3], v[18:19], v[24:25]
	v_fma_f64 v[74:75], v[74:75], -0.5, v[12:13]
	v_add_f64_e32 v[12:13], v[94:95], v[44:45]
	v_fma_f64 v[70:71], v[70:71], -0.5, v[8:9]
	v_fma_f64 v[72:73], v[72:73], -0.5, v[10:11]
	;; [unrolled: 1-line block ×3, first 2 shown]
	v_add_f64_e32 v[14:15], v[96:97], v[48:49]
	v_add_f64_e32 v[10:11], v[92:93], v[40:41]
	v_fma_f64 v[62:63], v[62:63], -0.5, v[4:5]
	v_fma_f64 v[68:69], v[68:69], -0.5, v[6:7]
	v_add_f64_e32 v[4:5], v[86:87], v[30:31]
	v_add_f64_e32 v[6:7], v[88:89], v[32:33]
	;; [unrolled: 1-line block ×3, first 2 shown]
	v_fma_f64 v[78:79], v[78:79], -0.5, v[64:65]
	v_add_f64_e32 v[42:43], v[100:101], v[56:57]
	v_add_f64_e32 v[8:9], v[90:91], v[38:39]
	v_fma_f64 v[110:111], v[80:81], -0.5, v[66:67]
	v_fma_f64 v[44:45], v[84:85], s[0:1], v[58:59]
	s_wait_alu 0xfffe
	v_fma_f64 v[46:47], v[16:17], s[2:3], v[60:61]
	v_fma_f64 v[48:49], v[84:85], s[2:3], v[58:59]
	;; [unrolled: 1-line block ×3, first 2 shown]
	ds_store_b128 v251, v[0:3]
	ds_store_b128 v251, v[44:47] offset:800
	ds_store_b128 v251, v[48:51] offset:1600
	scratch_load_b32 v0, off, off offset:236 th:TH_LOAD_LU ; 4-byte Folded Reload
	v_fma_f64 v[52:53], v[28:29], s[0:1], v[62:63]
	v_fma_f64 v[54:55], v[26:27], s[2:3], v[68:69]
	;; [unrolled: 1-line block ×16, first 2 shown]
	s_wait_loadcnt 0x0
	ds_store_b128 v0, v[4:7]
	ds_store_b128 v0, v[52:55] offset:800
	ds_store_b128 v0, v[56:59] offset:1600
	;; [unrolled: 1-line block ×5, first 2 shown]
	scratch_load_b32 v0, off, off offset:232 th:TH_LOAD_LU ; 4-byte Folded Reload
	s_wait_loadcnt 0x0
	ds_store_b128 v0, v[12:15]
	ds_store_b128 v0, v[68:71] offset:800
	ds_store_b128 v0, v[72:75] offset:1600
	scratch_load_b32 v0, off, off offset:228 th:TH_LOAD_LU ; 4-byte Folded Reload
	s_wait_loadcnt 0x0
	ds_store_b128 v0, v[40:43] offset:4800
	ds_store_b128 v0, v[76:79] offset:5600
	;; [unrolled: 1-line block ×3, first 2 shown]
	global_wb scope:SCOPE_SE
	s_wait_dscnt 0x0
	s_barrier_signal -1
	s_barrier_wait -1
	global_inv scope:SCOPE_SE
	ds_load_b128 v[0:3], v251 offset:2400
	ds_load_b128 v[4:7], v251 offset:4800
	;; [unrolled: 1-line block ×11, first 2 shown]
	s_wait_dscnt 0xa
	v_mul_f64_e32 v[22:23], v[150:151], v[2:3]
	v_mul_f64_e32 v[24:25], v[150:151], v[0:1]
	s_wait_dscnt 0x9
	v_mul_f64_e32 v[26:27], v[154:155], v[6:7]
	v_mul_f64_e32 v[28:29], v[154:155], v[4:5]
	;; [unrolled: 3-line block ×6, first 2 shown]
	s_wait_dscnt 0x4
	v_mul_f64_e32 v[70:71], v[174:175], v[46:47]
	s_wait_dscnt 0x3
	v_mul_f64_e32 v[72:73], v[178:179], v[50:51]
	v_mul_f64_e32 v[74:75], v[174:175], v[44:45]
	;; [unrolled: 1-line block ×3, first 2 shown]
	s_wait_dscnt 0x2
	v_mul_f64_e32 v[78:79], v[182:183], v[54:55]
	s_wait_dscnt 0x1
	v_mul_f64_e32 v[80:81], v[186:187], v[58:59]
	v_mul_f64_e32 v[82:83], v[182:183], v[52:53]
	;; [unrolled: 1-line block ×3, first 2 shown]
	v_fma_f64 v[22:23], v[148:149], v[0:1], v[22:23]
	v_fma_f64 v[24:25], v[148:149], v[2:3], -v[24:25]
	v_fma_f64 v[26:27], v[152:153], v[4:5], v[26:27]
	v_fma_f64 v[28:29], v[152:153], v[6:7], -v[28:29]
	;; [unrolled: 2-line block ×6, first 2 shown]
	v_fma_f64 v[42:43], v[172:173], v[44:45], v[70:71]
	v_fma_f64 v[44:45], v[176:177], v[48:49], v[72:73]
	v_fma_f64 v[46:47], v[172:173], v[46:47], -v[74:75]
	v_fma_f64 v[48:49], v[176:177], v[50:51], -v[76:77]
	v_fma_f64 v[50:51], v[180:181], v[52:53], v[78:79]
	v_fma_f64 v[52:53], v[184:185], v[56:57], v[80:81]
	v_fma_f64 v[54:55], v[180:181], v[54:55], -v[82:83]
	v_fma_f64 v[56:57], v[184:185], v[58:59], -v[84:85]
	ds_load_b128 v[0:3], v251
	ds_load_b128 v[4:7], v251 offset:480
	ds_load_b128 v[8:11], v251 offset:960
	;; [unrolled: 1-line block ×3, first 2 shown]
	v_add_f64_e32 v[58:59], v[22:23], v[26:27]
	v_add_f64_e32 v[64:65], v[24:25], v[28:29]
	s_wait_dscnt 0x3
	v_add_f64_e32 v[82:83], v[0:1], v[22:23]
	v_add_f64_e64 v[84:85], v[24:25], -v[28:29]
	v_add_f64_e32 v[66:67], v[30:31], v[34:35]
	v_add_f64_e32 v[68:69], v[32:33], v[36:37]
	;; [unrolled: 1-line block ×3, first 2 shown]
	s_wait_dscnt 0x2
	v_add_f64_e32 v[86:87], v[4:5], v[30:31]
	v_add_f64_e32 v[70:71], v[16:17], v[38:39]
	;; [unrolled: 1-line block ×5, first 2 shown]
	s_wait_dscnt 0x1
	v_add_f64_e32 v[90:91], v[8:9], v[16:17]
	v_add_f64_e32 v[76:77], v[46:47], v[48:49]
	;; [unrolled: 1-line block ×4, first 2 shown]
	v_add_f64_e64 v[22:23], v[22:23], -v[26:27]
	v_add_f64_e32 v[80:81], v[54:55], v[56:57]
	s_wait_dscnt 0x0
	v_add_f64_e32 v[96:97], v[14:15], v[46:47]
	v_add_f64_e64 v[32:33], v[32:33], -v[36:37]
	v_add_f64_e64 v[30:31], v[30:31], -v[34:35]
	v_add_f64_e32 v[94:95], v[12:13], v[42:43]
	v_add_f64_e32 v[100:101], v[62:63], v[54:55]
	v_add_f64_e64 v[102:103], v[18:19], -v[40:41]
	v_add_f64_e64 v[104:105], v[16:17], -v[38:39]
	v_add_f64_e32 v[98:99], v[60:61], v[50:51]
	v_add_f64_e64 v[106:107], v[46:47], -v[48:49]
	v_add_f64_e64 v[108:109], v[42:43], -v[44:45]
	;; [unrolled: 1-line block ×4, first 2 shown]
	v_fma_f64 v[58:59], v[58:59], -0.5, v[0:1]
	v_fma_f64 v[64:65], v[64:65], -0.5, v[2:3]
	v_add_f64_e32 v[0:1], v[82:83], v[26:27]
	v_fma_f64 v[66:67], v[66:67], -0.5, v[4:5]
	v_fma_f64 v[68:69], v[68:69], -0.5, v[6:7]
	v_add_f64_e32 v[2:3], v[24:25], v[28:29]
	v_add_f64_e32 v[4:5], v[86:87], v[34:35]
	v_fma_f64 v[70:71], v[70:71], -0.5, v[8:9]
	v_fma_f64 v[72:73], v[72:73], -0.5, v[10:11]
	v_add_f64_e32 v[6:7], v[88:89], v[36:37]
	v_fma_f64 v[74:75], v[74:75], -0.5, v[12:13]
	v_add_f64_e32 v[8:9], v[90:91], v[38:39]
	v_fma_f64 v[76:77], v[76:77], -0.5, v[14:15]
	v_add_f64_e32 v[10:11], v[92:93], v[40:41]
	v_fma_f64 v[78:79], v[78:79], -0.5, v[60:61]
	v_mad_co_u64_u32 v[24:25], null, s4, v21, 0
	v_fma_f64 v[80:81], v[80:81], -0.5, v[62:63]
	v_add_f64_e32 v[14:15], v[96:97], v[48:49]
	v_add_f64_e32 v[12:13], v[94:95], v[44:45]
	;; [unrolled: 1-line block ×4, first 2 shown]
	v_fma_f64 v[40:41], v[84:85], s[0:1], v[58:59]
	v_fma_f64 v[42:43], v[22:23], s[2:3], v[64:65]
	;; [unrolled: 1-line block ×20, first 2 shown]
	ds_store_b128 v251, v[0:3]
	ds_store_b128 v254, v[4:7] offset:480
	ds_store_b128 v254, v[8:11] offset:960
	;; [unrolled: 1-line block ×14, first 2 shown]
	global_wb scope:SCOPE_SE
	s_wait_dscnt 0x0
	s_barrier_signal -1
	s_barrier_wait -1
	global_inv scope:SCOPE_SE
	ds_load_b128 v[0:3], v251
	ds_load_b128 v[4:7], v251 offset:720
	scratch_load_b64 v[8:9], off, off offset:8 th:TH_LOAD_LU ; 8-byte Folded Reload
	s_mul_u64 s[2:3], s[4:5], 45
	s_wait_alu 0xfffe
	s_lshl_b64 s[2:3], s[2:3], 4
	s_wait_loadcnt 0x0
	v_mov_b32_e32 v26, v8
	ds_load_b128 v[8:11], v251 offset:1440
	ds_load_b128 v[12:15], v251 offset:2160
	;; [unrolled: 1-line block ×8, first 2 shown]
	scratch_load_b128 v[88:91], off, off offset:16 th:TH_LOAD_LU ; 16-byte Folded Reload
	v_mad_co_u64_u32 v[22:23], null, s6, v26, 0
	s_delay_alu instid0(VALU_DEP_1) | instskip(NEXT) | instid1(VALU_DEP_1)
	v_dual_mov_b32 v20, v23 :: v_dual_mov_b32 v23, v25
	v_mad_co_u64_u32 v[25:26], null, s7, v26, v[20:21]
	s_delay_alu instid0(VALU_DEP_2) | instskip(SKIP_2) | instid1(VALU_DEP_2)
	v_mad_co_u64_u32 v[20:21], null, s5, v21, v[23:24]
	s_mov_b32 s6, 0x789abcdf
	s_mov_b32 s7, 0x3f623456
	v_mov_b32_e32 v23, v25
	s_delay_alu instid0(VALU_DEP_2) | instskip(NEXT) | instid1(VALU_DEP_2)
	v_mov_b32_e32 v25, v20
	v_lshlrev_b64_e32 v[20:21], 4, v[22:23]
	s_delay_alu instid0(VALU_DEP_2) | instskip(NEXT) | instid1(VALU_DEP_2)
	v_lshlrev_b64_e32 v[22:23], 4, v[24:25]
	v_add_co_u32 v86, s0, s10, v20
	s_wait_alu 0xf1ff
	s_delay_alu instid0(VALU_DEP_3)
	v_add_co_ci_u32_e64 v87, s0, s11, v21, s0
	s_wait_loadcnt_dscnt 0x9
	v_mul_f64_e32 v[26:27], v[90:91], v[2:3]
	v_mul_f64_e32 v[28:29], v[90:91], v[0:1]
	scratch_load_b128 v[90:93], off, off offset:32 th:TH_LOAD_LU ; 16-byte Folded Reload
	v_fma_f64 v[0:1], v[88:89], v[0:1], v[26:27]
	v_fma_f64 v[20:21], v[88:89], v[2:3], -v[28:29]
	s_wait_alu 0xfffe
	s_delay_alu instid0(VALU_DEP_2)
	v_mul_f64_e32 v[2:3], s[6:7], v[0:1]
	s_wait_loadcnt_dscnt 0x8
	v_mul_f64_e32 v[30:31], v[92:93], v[6:7]
	v_mul_f64_e32 v[32:33], v[92:93], v[4:5]
	scratch_load_b128 v[92:95], off, off offset:48 th:TH_LOAD_LU ; 16-byte Folded Reload
	v_fma_f64 v[24:25], v[90:91], v[4:5], v[30:31]
	v_fma_f64 v[26:27], v[90:91], v[6:7], -v[32:33]
	v_mul_f64_e32 v[4:5], s[6:7], v[20:21]
	s_delay_alu instid0(VALU_DEP_3)
	v_mul_f64_e32 v[6:7], s[6:7], v[24:25]
	s_wait_loadcnt_dscnt 0x7
	v_mul_f64_e32 v[34:35], v[94:95], v[10:11]
	v_mul_f64_e32 v[36:37], v[94:95], v[8:9]
	scratch_load_b128 v[94:97], off, off offset:64 th:TH_LOAD_LU ; 16-byte Folded Reload
	v_fma_f64 v[28:29], v[92:93], v[8:9], v[34:35]
	v_fma_f64 v[30:31], v[92:93], v[10:11], -v[36:37]
	v_mul_f64_e32 v[8:9], s[6:7], v[26:27]
	s_delay_alu instid0(VALU_DEP_3)
	v_mul_f64_e32 v[10:11], s[6:7], v[28:29]
	s_wait_loadcnt_dscnt 0x6
	v_mul_f64_e32 v[38:39], v[96:97], v[14:15]
	v_mul_f64_e32 v[60:61], v[96:97], v[12:13]
	scratch_load_b128 v[96:99], off, off offset:80 th:TH_LOAD_LU ; 16-byte Folded Reload
	v_fma_f64 v[32:33], v[94:95], v[12:13], v[38:39]
	v_fma_f64 v[34:35], v[94:95], v[14:15], -v[60:61]
	v_add_co_u32 v60, s0, v86, v22
	s_wait_alu 0xf1ff
	v_add_co_ci_u32_e64 v61, s0, v87, v23, s0
	v_mul_f64_e32 v[12:13], s[6:7], v[30:31]
	v_mul_f64_e32 v[14:15], s[6:7], v[32:33]
	s_wait_loadcnt_dscnt 0x5
	v_mul_f64_e32 v[62:63], v[98:99], v[18:19]
	v_mul_f64_e32 v[64:65], v[98:99], v[16:17]
	scratch_load_b128 v[98:101], off, off offset:96 th:TH_LOAD_LU ; 16-byte Folded Reload
	v_fma_f64 v[36:37], v[96:97], v[16:17], v[62:63]
	v_fma_f64 v[38:39], v[96:97], v[18:19], -v[64:65]
	v_add_co_u32 v62, s0, v60, s2
	s_wait_alu 0xf1ff
	v_add_co_ci_u32_e64 v63, s0, s3, v61, s0
	v_mul_f64_e32 v[16:17], s[6:7], v[34:35]
	s_delay_alu instid0(VALU_DEP_3) | instskip(SKIP_1) | instid1(VALU_DEP_3)
	v_add_co_u32 v64, s0, v62, s2
	s_wait_alu 0xf1ff
	v_add_co_ci_u32_e64 v65, s0, s3, v63, s0
	v_mul_f64_e32 v[18:19], s[6:7], v[36:37]
	v_mul_f64_e32 v[20:21], s[6:7], v[38:39]
	s_wait_loadcnt_dscnt 0x4
	v_mul_f64_e32 v[66:67], v[100:101], v[42:43]
	v_mul_f64_e32 v[68:69], v[100:101], v[40:41]
	scratch_load_b128 v[100:103], off, off offset:112 th:TH_LOAD_LU ; 16-byte Folded Reload
	v_fma_f64 v[40:41], v[98:99], v[40:41], v[66:67]
	v_fma_f64 v[42:43], v[98:99], v[42:43], -v[68:69]
	v_add_co_u32 v66, s0, v64, s2
	s_wait_alu 0xf1ff
	v_add_co_ci_u32_e64 v67, s0, s3, v65, s0
	s_delay_alu instid0(VALU_DEP_4) | instskip(NEXT) | instid1(VALU_DEP_4)
	v_mul_f64_e32 v[22:23], s[6:7], v[40:41]
	v_mul_f64_e32 v[24:25], s[6:7], v[42:43]
	v_add_co_u32 v42, s0, v66, s2
	s_wait_alu 0xf1ff
	v_add_co_ci_u32_e64 v43, s0, s3, v67, s0
	s_wait_loadcnt_dscnt 0x3
	v_mul_f64_e32 v[70:71], v[102:103], v[46:47]
	v_mul_f64_e32 v[72:73], v[102:103], v[44:45]
	scratch_load_b128 v[102:105], off, off offset:128 th:TH_LOAD_LU ; 16-byte Folded Reload
	v_fma_f64 v[44:45], v[100:101], v[44:45], v[70:71]
	v_fma_f64 v[46:47], v[100:101], v[46:47], -v[72:73]
	s_delay_alu instid0(VALU_DEP_2) | instskip(NEXT) | instid1(VALU_DEP_2)
	v_mul_f64_e32 v[26:27], s[6:7], v[44:45]
	v_mul_f64_e32 v[28:29], s[6:7], v[46:47]
	v_add_co_u32 v44, s0, v42, s2
	s_wait_alu 0xf1ff
	v_add_co_ci_u32_e64 v45, s0, s3, v43, s0
	s_delay_alu instid0(VALU_DEP_2) | instskip(SKIP_1) | instid1(VALU_DEP_2)
	v_add_co_u32 v46, s0, v44, s2
	s_wait_alu 0xf1ff
	v_add_co_ci_u32_e64 v47, s0, s3, v45, s0
	s_wait_loadcnt_dscnt 0x2
	v_mul_f64_e32 v[74:75], v[104:105], v[50:51]
	v_mul_f64_e32 v[76:77], v[104:105], v[48:49]
	scratch_load_b128 v[104:107], off, off offset:144 th:TH_LOAD_LU ; 16-byte Folded Reload
	v_fma_f64 v[48:49], v[102:103], v[48:49], v[74:75]
	v_fma_f64 v[50:51], v[102:103], v[50:51], -v[76:77]
	s_delay_alu instid0(VALU_DEP_2) | instskip(NEXT) | instid1(VALU_DEP_2)
	v_mul_f64_e32 v[30:31], s[6:7], v[48:49]
	v_mul_f64_e32 v[32:33], s[6:7], v[50:51]
	v_add_co_u32 v48, s0, v46, s2
	s_wait_alu 0xf1ff
	v_add_co_ci_u32_e64 v49, s0, s3, v47, s0
	s_delay_alu instid0(VALU_DEP_2) | instskip(SKIP_1) | instid1(VALU_DEP_2)
	v_add_co_u32 v50, s0, v48, s2
	s_wait_alu 0xf1ff
	v_add_co_ci_u32_e64 v51, s0, s3, v49, s0
	s_delay_alu instid0(VALU_DEP_2) | instskip(SKIP_1) | instid1(VALU_DEP_2)
	v_add_co_u32 v0, s0, v50, s2
	s_wait_alu 0xf1ff
	v_add_co_ci_u32_e64 v1, s0, s3, v51, s0
	s_wait_loadcnt_dscnt 0x1
	v_mul_f64_e32 v[78:79], v[106:107], v[54:55]
	v_mul_f64_e32 v[80:81], v[106:107], v[52:53]
	scratch_load_b128 v[106:109], off, off offset:160 th:TH_LOAD_LU ; 16-byte Folded Reload
	v_fma_f64 v[52:53], v[104:105], v[52:53], v[78:79]
	v_fma_f64 v[54:55], v[104:105], v[54:55], -v[80:81]
	s_delay_alu instid0(VALU_DEP_2) | instskip(NEXT) | instid1(VALU_DEP_2)
	v_mul_f64_e32 v[34:35], s[6:7], v[52:53]
	v_mul_f64_e32 v[36:37], s[6:7], v[54:55]
	s_wait_loadcnt_dscnt 0x0
	v_mul_f64_e32 v[82:83], v[108:109], v[58:59]
	v_mul_f64_e32 v[84:85], v[108:109], v[56:57]
	s_delay_alu instid0(VALU_DEP_2) | instskip(NEXT) | instid1(VALU_DEP_2)
	v_fma_f64 v[56:57], v[106:107], v[56:57], v[82:83]
	v_fma_f64 v[58:59], v[106:107], v[58:59], -v[84:85]
	s_delay_alu instid0(VALU_DEP_2) | instskip(NEXT) | instid1(VALU_DEP_2)
	v_mul_f64_e32 v[38:39], s[6:7], v[56:57]
	v_mul_f64_e32 v[40:41], s[6:7], v[58:59]
	s_clause 0x4
	global_store_b128 v[60:61], v[2:5], off
	global_store_b128 v[62:63], v[6:9], off
	;; [unrolled: 1-line block ×10, first 2 shown]
	s_and_b32 exec_lo, exec_lo, vcc_lo
	s_cbranch_execz .LBB0_15
; %bb.14:
	scratch_load_b64 v[20:21], off, off th:TH_LOAD_LU ; 8-byte Folded Reload
	s_mul_i32 s0, s5, 0xffffe890
	s_wait_alu 0xfffe
	s_sub_co_i32 s0, s0, s4
	s_wait_loadcnt 0x0
	global_load_b128 v[2:5], v[20:21], off offset:480
	ds_load_b128 v[6:9], v254 offset:480
	ds_load_b128 v[10:13], v254 offset:1920
	s_wait_loadcnt_dscnt 0x1
	v_mul_f64_e32 v[14:15], v[8:9], v[4:5]
	v_mul_f64_e32 v[4:5], v[6:7], v[4:5]
	s_delay_alu instid0(VALU_DEP_2) | instskip(NEXT) | instid1(VALU_DEP_2)
	v_fma_f64 v[6:7], v[6:7], v[2:3], v[14:15]
	v_fma_f64 v[4:5], v[2:3], v[8:9], -v[4:5]
	v_mad_co_u64_u32 v[8:9], null, 0xffffe890, s4, v[0:1]
	s_wait_alu 0xfffe
	s_delay_alu instid0(VALU_DEP_1) | instskip(NEXT) | instid1(VALU_DEP_4)
	v_add_nc_u32_e32 v9, s0, v9
	v_mul_f64_e32 v[2:3], s[6:7], v[6:7]
	s_delay_alu instid0(VALU_DEP_4)
	v_mul_f64_e32 v[4:5], s[6:7], v[4:5]
	global_store_b128 v[8:9], v[2:5], off
	global_load_b128 v[0:3], v[20:21], off offset:1200
	ds_load_b128 v[4:7], v251 offset:1200
	ds_load_b128 v[14:17], v251 offset:2640
	s_wait_loadcnt_dscnt 0x1
	v_mul_f64_e32 v[18:19], v[6:7], v[2:3]
	v_mul_f64_e32 v[2:3], v[4:5], v[2:3]
	s_delay_alu instid0(VALU_DEP_2) | instskip(NEXT) | instid1(VALU_DEP_2)
	v_fma_f64 v[4:5], v[4:5], v[0:1], v[18:19]
	v_fma_f64 v[2:3], v[0:1], v[6:7], -v[2:3]
	s_delay_alu instid0(VALU_DEP_2) | instskip(NEXT) | instid1(VALU_DEP_2)
	v_mul_f64_e32 v[0:1], s[6:7], v[4:5]
	v_mul_f64_e32 v[2:3], s[6:7], v[2:3]
	v_add_co_u32 v4, vcc_lo, v8, s2
	s_wait_alu 0xfffd
	v_add_co_ci_u32_e32 v5, vcc_lo, s3, v9, vcc_lo
	global_store_b128 v[4:5], v[0:3], off
	global_load_b128 v[0:3], v[20:21], off offset:1920
	v_add_co_u32 v4, vcc_lo, v4, s2
	s_wait_alu 0xfffd
	v_add_co_ci_u32_e32 v5, vcc_lo, s3, v5, vcc_lo
	s_wait_loadcnt 0x0
	v_mul_f64_e32 v[6:7], v[12:13], v[2:3]
	v_mul_f64_e32 v[2:3], v[10:11], v[2:3]
	s_delay_alu instid0(VALU_DEP_2) | instskip(NEXT) | instid1(VALU_DEP_2)
	v_fma_f64 v[6:7], v[10:11], v[0:1], v[6:7]
	v_fma_f64 v[2:3], v[0:1], v[12:13], -v[2:3]
	v_add_co_u32 v12, vcc_lo, v4, s2
	s_wait_alu 0xfffd
	v_add_co_ci_u32_e32 v13, vcc_lo, s3, v5, vcc_lo
	s_delay_alu instid0(VALU_DEP_4) | instskip(NEXT) | instid1(VALU_DEP_4)
	v_mul_f64_e32 v[0:1], s[6:7], v[6:7]
	v_mul_f64_e32 v[2:3], s[6:7], v[2:3]
	global_store_b128 v[4:5], v[0:3], off
	global_load_b128 v[0:3], v[20:21], off offset:2640
	s_wait_loadcnt_dscnt 0x0
	v_mul_f64_e32 v[6:7], v[16:17], v[2:3]
	v_mul_f64_e32 v[2:3], v[14:15], v[2:3]
	s_delay_alu instid0(VALU_DEP_2) | instskip(NEXT) | instid1(VALU_DEP_2)
	v_fma_f64 v[6:7], v[14:15], v[0:1], v[6:7]
	v_fma_f64 v[2:3], v[0:1], v[16:17], -v[2:3]
	s_delay_alu instid0(VALU_DEP_2) | instskip(NEXT) | instid1(VALU_DEP_2)
	v_mul_f64_e32 v[0:1], s[6:7], v[6:7]
	v_mul_f64_e32 v[2:3], s[6:7], v[2:3]
	global_store_b128 v[12:13], v[0:3], off
	global_load_b128 v[0:3], v[20:21], off offset:3360
	ds_load_b128 v[4:7], v251 offset:3360
	ds_load_b128 v[8:11], v251 offset:4080
	s_wait_loadcnt_dscnt 0x1
	v_mul_f64_e32 v[14:15], v[6:7], v[2:3]
	v_mul_f64_e32 v[2:3], v[4:5], v[2:3]
	s_delay_alu instid0(VALU_DEP_2) | instskip(NEXT) | instid1(VALU_DEP_2)
	v_fma_f64 v[4:5], v[4:5], v[0:1], v[14:15]
	v_fma_f64 v[2:3], v[0:1], v[6:7], -v[2:3]
	s_delay_alu instid0(VALU_DEP_2) | instskip(NEXT) | instid1(VALU_DEP_2)
	v_mul_f64_e32 v[0:1], s[6:7], v[4:5]
	v_mul_f64_e32 v[2:3], s[6:7], v[2:3]
	v_add_co_u32 v4, vcc_lo, v12, s2
	s_wait_alu 0xfffd
	v_add_co_ci_u32_e32 v5, vcc_lo, s3, v13, vcc_lo
	s_delay_alu instid0(VALU_DEP_2) | instskip(SKIP_1) | instid1(VALU_DEP_2)
	v_add_co_u32 v12, vcc_lo, v4, s2
	s_wait_alu 0xfffd
	v_add_co_ci_u32_e32 v13, vcc_lo, s3, v5, vcc_lo
	global_store_b128 v[4:5], v[0:3], off
	global_load_b128 v[0:3], v[20:21], off offset:4080
	s_wait_loadcnt_dscnt 0x0
	v_mul_f64_e32 v[6:7], v[10:11], v[2:3]
	v_mul_f64_e32 v[2:3], v[8:9], v[2:3]
	s_delay_alu instid0(VALU_DEP_2) | instskip(NEXT) | instid1(VALU_DEP_2)
	v_fma_f64 v[6:7], v[8:9], v[0:1], v[6:7]
	v_fma_f64 v[2:3], v[0:1], v[10:11], -v[2:3]
	s_delay_alu instid0(VALU_DEP_2) | instskip(NEXT) | instid1(VALU_DEP_2)
	v_mul_f64_e32 v[0:1], s[6:7], v[6:7]
	v_mul_f64_e32 v[2:3], s[6:7], v[2:3]
	global_store_b128 v[12:13], v[0:3], off
	global_load_b128 v[0:3], v[20:21], off offset:4800
	ds_load_b128 v[4:7], v251 offset:4800
	ds_load_b128 v[8:11], v251 offset:5520
	s_wait_loadcnt_dscnt 0x1
	v_mul_f64_e32 v[14:15], v[6:7], v[2:3]
	v_mul_f64_e32 v[2:3], v[4:5], v[2:3]
	s_delay_alu instid0(VALU_DEP_2) | instskip(NEXT) | instid1(VALU_DEP_2)
	v_fma_f64 v[4:5], v[4:5], v[0:1], v[14:15]
	v_fma_f64 v[2:3], v[0:1], v[6:7], -v[2:3]
	s_delay_alu instid0(VALU_DEP_2) | instskip(NEXT) | instid1(VALU_DEP_2)
	v_mul_f64_e32 v[0:1], s[6:7], v[4:5]
	v_mul_f64_e32 v[2:3], s[6:7], v[2:3]
	v_add_co_u32 v4, vcc_lo, v12, s2
	s_wait_alu 0xfffd
	v_add_co_ci_u32_e32 v5, vcc_lo, s3, v13, vcc_lo
	s_delay_alu instid0(VALU_DEP_2) | instskip(SKIP_1) | instid1(VALU_DEP_2)
	v_add_co_u32 v12, vcc_lo, v4, s2
	s_wait_alu 0xfffd
	v_add_co_ci_u32_e32 v13, vcc_lo, s3, v5, vcc_lo
	global_store_b128 v[4:5], v[0:3], off
	global_load_b128 v[0:3], v[20:21], off offset:5520
	s_wait_loadcnt_dscnt 0x0
	v_mul_f64_e32 v[6:7], v[10:11], v[2:3]
	v_mul_f64_e32 v[2:3], v[8:9], v[2:3]
	s_delay_alu instid0(VALU_DEP_2) | instskip(NEXT) | instid1(VALU_DEP_2)
	v_fma_f64 v[6:7], v[8:9], v[0:1], v[6:7]
	v_fma_f64 v[2:3], v[0:1], v[10:11], -v[2:3]
	s_delay_alu instid0(VALU_DEP_2) | instskip(NEXT) | instid1(VALU_DEP_2)
	v_mul_f64_e32 v[0:1], s[6:7], v[6:7]
	v_mul_f64_e32 v[2:3], s[6:7], v[2:3]
	global_store_b128 v[12:13], v[0:3], off
	global_load_b128 v[0:3], v[20:21], off offset:6240
	ds_load_b128 v[4:7], v251 offset:6240
	ds_load_b128 v[8:11], v251 offset:6960
	s_wait_loadcnt_dscnt 0x1
	v_mul_f64_e32 v[14:15], v[6:7], v[2:3]
	v_mul_f64_e32 v[2:3], v[4:5], v[2:3]
	s_delay_alu instid0(VALU_DEP_2) | instskip(NEXT) | instid1(VALU_DEP_2)
	v_fma_f64 v[4:5], v[4:5], v[0:1], v[14:15]
	v_fma_f64 v[2:3], v[0:1], v[6:7], -v[2:3]
	s_delay_alu instid0(VALU_DEP_2) | instskip(NEXT) | instid1(VALU_DEP_2)
	v_mul_f64_e32 v[0:1], s[6:7], v[4:5]
	v_mul_f64_e32 v[2:3], s[6:7], v[2:3]
	v_add_co_u32 v4, vcc_lo, v12, s2
	s_wait_alu 0xfffd
	v_add_co_ci_u32_e32 v5, vcc_lo, s3, v13, vcc_lo
	global_store_b128 v[4:5], v[0:3], off
	global_load_b128 v[0:3], v[20:21], off offset:6960
	v_add_co_u32 v4, vcc_lo, v4, s2
	s_wait_alu 0xfffd
	v_add_co_ci_u32_e32 v5, vcc_lo, s3, v5, vcc_lo
	s_wait_loadcnt_dscnt 0x0
	v_mul_f64_e32 v[6:7], v[10:11], v[2:3]
	v_mul_f64_e32 v[2:3], v[8:9], v[2:3]
	s_delay_alu instid0(VALU_DEP_2) | instskip(NEXT) | instid1(VALU_DEP_2)
	v_fma_f64 v[6:7], v[8:9], v[0:1], v[6:7]
	v_fma_f64 v[2:3], v[0:1], v[10:11], -v[2:3]
	s_delay_alu instid0(VALU_DEP_2) | instskip(NEXT) | instid1(VALU_DEP_2)
	v_mul_f64_e32 v[0:1], s[6:7], v[6:7]
	v_mul_f64_e32 v[2:3], s[6:7], v[2:3]
	global_store_b128 v[4:5], v[0:3], off
.LBB0_15:
	s_nop 0
	s_sendmsg sendmsg(MSG_DEALLOC_VGPRS)
	s_endpgm
	.section	.rodata,"a",@progbits
	.p2align	6, 0x0
	.amdhsa_kernel bluestein_single_fwd_len450_dim1_dp_op_CI_CI
		.amdhsa_group_segment_fixed_size 28800
		.amdhsa_private_segment_fixed_size 252
		.amdhsa_kernarg_size 104
		.amdhsa_user_sgpr_count 2
		.amdhsa_user_sgpr_dispatch_ptr 0
		.amdhsa_user_sgpr_queue_ptr 0
		.amdhsa_user_sgpr_kernarg_segment_ptr 1
		.amdhsa_user_sgpr_dispatch_id 0
		.amdhsa_user_sgpr_private_segment_size 0
		.amdhsa_wavefront_size32 1
		.amdhsa_uses_dynamic_stack 0
		.amdhsa_enable_private_segment 1
		.amdhsa_system_sgpr_workgroup_id_x 1
		.amdhsa_system_sgpr_workgroup_id_y 0
		.amdhsa_system_sgpr_workgroup_id_z 0
		.amdhsa_system_sgpr_workgroup_info 0
		.amdhsa_system_vgpr_workitem_id 0
		.amdhsa_next_free_vgpr 256
		.amdhsa_next_free_sgpr 23
		.amdhsa_reserve_vcc 1
		.amdhsa_float_round_mode_32 0
		.amdhsa_float_round_mode_16_64 0
		.amdhsa_float_denorm_mode_32 3
		.amdhsa_float_denorm_mode_16_64 3
		.amdhsa_fp16_overflow 0
		.amdhsa_workgroup_processor_mode 1
		.amdhsa_memory_ordered 1
		.amdhsa_forward_progress 0
		.amdhsa_round_robin_scheduling 0
		.amdhsa_exception_fp_ieee_invalid_op 0
		.amdhsa_exception_fp_denorm_src 0
		.amdhsa_exception_fp_ieee_div_zero 0
		.amdhsa_exception_fp_ieee_overflow 0
		.amdhsa_exception_fp_ieee_underflow 0
		.amdhsa_exception_fp_ieee_inexact 0
		.amdhsa_exception_int_div_zero 0
	.end_amdhsa_kernel
	.text
.Lfunc_end0:
	.size	bluestein_single_fwd_len450_dim1_dp_op_CI_CI, .Lfunc_end0-bluestein_single_fwd_len450_dim1_dp_op_CI_CI
                                        ; -- End function
	.section	.AMDGPU.csdata,"",@progbits
; Kernel info:
; codeLenInByte = 20136
; NumSgprs: 25
; NumVgprs: 256
; ScratchSize: 252
; MemoryBound: 0
; FloatMode: 240
; IeeeMode: 1
; LDSByteSize: 28800 bytes/workgroup (compile time only)
; SGPRBlocks: 3
; VGPRBlocks: 31
; NumSGPRsForWavesPerEU: 25
; NumVGPRsForWavesPerEU: 256
; Occupancy: 4
; WaveLimiterHint : 1
; COMPUTE_PGM_RSRC2:SCRATCH_EN: 1
; COMPUTE_PGM_RSRC2:USER_SGPR: 2
; COMPUTE_PGM_RSRC2:TRAP_HANDLER: 0
; COMPUTE_PGM_RSRC2:TGID_X_EN: 1
; COMPUTE_PGM_RSRC2:TGID_Y_EN: 0
; COMPUTE_PGM_RSRC2:TGID_Z_EN: 0
; COMPUTE_PGM_RSRC2:TIDIG_COMP_CNT: 0
	.text
	.p2alignl 7, 3214868480
	.fill 96, 4, 3214868480
	.type	__hip_cuid_e0bd3b18aebf8ce8,@object ; @__hip_cuid_e0bd3b18aebf8ce8
	.section	.bss,"aw",@nobits
	.globl	__hip_cuid_e0bd3b18aebf8ce8
__hip_cuid_e0bd3b18aebf8ce8:
	.byte	0                               ; 0x0
	.size	__hip_cuid_e0bd3b18aebf8ce8, 1

	.ident	"AMD clang version 19.0.0git (https://github.com/RadeonOpenCompute/llvm-project roc-6.4.0 25133 c7fe45cf4b819c5991fe208aaa96edf142730f1d)"
	.section	".note.GNU-stack","",@progbits
	.addrsig
	.addrsig_sym __hip_cuid_e0bd3b18aebf8ce8
	.amdgpu_metadata
---
amdhsa.kernels:
  - .args:
      - .actual_access:  read_only
        .address_space:  global
        .offset:         0
        .size:           8
        .value_kind:     global_buffer
      - .actual_access:  read_only
        .address_space:  global
        .offset:         8
        .size:           8
        .value_kind:     global_buffer
      - .actual_access:  read_only
        .address_space:  global
        .offset:         16
        .size:           8
        .value_kind:     global_buffer
      - .actual_access:  read_only
        .address_space:  global
        .offset:         24
        .size:           8
        .value_kind:     global_buffer
      - .actual_access:  read_only
        .address_space:  global
        .offset:         32
        .size:           8
        .value_kind:     global_buffer
      - .offset:         40
        .size:           8
        .value_kind:     by_value
      - .address_space:  global
        .offset:         48
        .size:           8
        .value_kind:     global_buffer
      - .address_space:  global
        .offset:         56
        .size:           8
        .value_kind:     global_buffer
      - .address_space:  global
        .offset:         64
        .size:           8
        .value_kind:     global_buffer
      - .address_space:  global
        .offset:         72
        .size:           8
        .value_kind:     global_buffer
      - .offset:         80
        .size:           4
        .value_kind:     by_value
      - .address_space:  global
        .offset:         88
        .size:           8
        .value_kind:     global_buffer
      - .address_space:  global
        .offset:         96
        .size:           8
        .value_kind:     global_buffer
    .group_segment_fixed_size: 28800
    .kernarg_segment_align: 8
    .kernarg_segment_size: 104
    .language:       OpenCL C
    .language_version:
      - 2
      - 0
    .max_flat_workgroup_size: 120
    .name:           bluestein_single_fwd_len450_dim1_dp_op_CI_CI
    .private_segment_fixed_size: 252
    .sgpr_count:     25
    .sgpr_spill_count: 0
    .symbol:         bluestein_single_fwd_len450_dim1_dp_op_CI_CI.kd
    .uniform_work_group_size: 1
    .uses_dynamic_stack: false
    .vgpr_count:     256
    .vgpr_spill_count: 62
    .wavefront_size: 32
    .workgroup_processor_mode: 1
amdhsa.target:   amdgcn-amd-amdhsa--gfx1201
amdhsa.version:
  - 1
  - 2
...

	.end_amdgpu_metadata
